;; amdgpu-corpus repo=ROCm/rocFFT kind=compiled arch=gfx906 opt=O3
	.text
	.amdgcn_target "amdgcn-amd-amdhsa--gfx906"
	.amdhsa_code_object_version 6
	.protected	bluestein_single_fwd_len11200_dim1_half_op_CI_CI ; -- Begin function bluestein_single_fwd_len11200_dim1_half_op_CI_CI
	.globl	bluestein_single_fwd_len11200_dim1_half_op_CI_CI
	.p2align	8
	.type	bluestein_single_fwd_len11200_dim1_half_op_CI_CI,@function
bluestein_single_fwd_len11200_dim1_half_op_CI_CI: ; @bluestein_single_fwd_len11200_dim1_half_op_CI_CI
; %bb.0:
	s_load_dwordx4 s[12:15], s[4:5], 0x28
	v_mul_u32_u24_e32 v1, 0x125, v0
	s_mov_b64 s[26:27], s[2:3]
	v_lshrrev_b32_e32 v1, 17, v1
	s_mov_b64 s[24:25], s[0:1]
	v_add_u32_e32 v4, s6, v1
	v_mov_b32_e32 v5, 0
	s_add_u32 s24, s24, s7
	s_waitcnt lgkmcnt(0)
	v_cmp_gt_u64_e32 vcc, s[12:13], v[4:5]
	s_addc_u32 s25, s25, 0
	s_and_saveexec_b64 s[0:1], vcc
	s_cbranch_execz .LBB0_31
; %bb.1:
	s_load_dwordx4 s[0:3], s[4:5], 0x18
	s_load_dwordx2 s[16:17], s[4:5], 0x0
	v_mul_lo_u16_e32 v1, 0x1c0, v1
	v_sub_u16_e32 v68, v0, v1
	v_mov_b32_e32 v5, v4
	s_waitcnt lgkmcnt(0)
	s_load_dwordx4 s[8:11], s[0:1], 0x0
	buffer_store_dword v5, off, s[24:27], 0 offset:160 ; 4-byte Folded Spill
	s_nop 0
	buffer_store_dword v6, off, s[24:27], 0 offset:164 ; 4-byte Folded Spill
	v_lshlrev_b32_e32 v107, 2, v68
	v_add_co_u32_e64 v29, s[6:7], s16, v107
	s_waitcnt lgkmcnt(0)
	v_mad_u64_u32 v[0:1], s[0:1], s10, v4, 0
	v_mad_u64_u32 v[2:3], s[0:1], s8, v68, 0
	global_load_dword v32, v107, s[16:17]
	v_mad_u64_u32 v[4:5], s[0:1], s11, v4, v[1:2]
	v_mad_u64_u32 v[5:6], s[0:1], s9, v68, v[3:4]
	v_mov_b32_e32 v1, v4
	v_lshlrev_b64 v[0:1], 2, v[0:1]
	v_mov_b32_e32 v6, s15
	v_mov_b32_e32 v3, v5
	v_add_co_u32_e32 v4, vcc, s14, v0
	v_addc_co_u32_e32 v5, vcc, v6, v1, vcc
	v_lshlrev_b64 v[0:1], 2, v[2:3]
	s_mul_i32 s0, s9, 0xaf0
	s_mul_hi_u32 s1, s8, 0xaf0
	v_add_co_u32_e32 v0, vcc, v4, v0
	v_mov_b32_e32 v2, s17
	s_add_i32 s1, s1, s0
	s_mul_i32 s0, s8, 0xaf0
	v_addc_co_u32_e32 v1, vcc, v5, v1, vcc
	v_addc_co_u32_e64 v30, vcc, 0, v2, s[6:7]
	s_lshl_b64 s[14:15], s[0:1], 2
	global_load_dword v18, v[0:1], off
	v_mov_b32_e32 v6, s15
	v_add_co_u32_e32 v0, vcc, s14, v0
	v_addc_co_u32_e32 v1, vcc, v1, v6, vcc
	s_movk_i32 s0, 0x2000
	v_add_co_u32_e32 v4, vcc, s0, v29
	global_load_dword v8, v[0:1], off
	v_addc_co_u32_e32 v5, vcc, 0, v30, vcc
	global_load_dword v38, v[4:5], off offset:3008
	v_add_co_u32_e32 v2, vcc, s14, v0
	v_addc_co_u32_e32 v3, vcc, v1, v6, vcc
	s_movk_i32 s0, 0x5000
	global_load_dword v9, v[2:3], off
	v_add_co_u32_e32 v0, vcc, s0, v29
	v_addc_co_u32_e32 v1, vcc, 0, v30, vcc
	global_load_dword v37, v[0:1], off offset:1920
	v_add_co_u32_e32 v12, vcc, s14, v2
	v_addc_co_u32_e32 v13, vcc, v3, v6, vcc
	s_mov_b32 s0, 0x8000
	v_add_co_u32_e32 v2, vcc, s0, v29
	s_mul_hi_u32 s1, s8, 0xffffe0f0
	global_load_dword v11, v[12:13], off
	v_addc_co_u32_e32 v3, vcc, 0, v30, vcc
	global_load_dword v36, v[2:3], off offset:832
	s_mul_i32 s0, s9, 0xffffe0f0
	s_sub_i32 s1, s1, s8
	s_add_i32 s1, s1, s0
	s_mul_i32 s0, s8, 0xffffe0f0
	s_lshl_b64 s[18:19], s[0:1], 2
	v_mov_b32_e32 v7, s19
	v_add_co_u32_e32 v14, vcc, s18, v12
	v_addc_co_u32_e32 v15, vcc, v13, v7, vcc
	global_load_dword v12, v[14:15], off
	global_load_dword v35, v107, s[16:17] offset:1792
	v_add_co_u32_e32 v14, vcc, s14, v14
	v_addc_co_u32_e32 v15, vcc, v15, v6, vcc
	s_movk_i32 s0, 0x3000
	v_add_co_u32_e32 v16, vcc, s0, v29
	global_load_dword v13, v[14:15], off
	v_addc_co_u32_e32 v17, vcc, 0, v30, vcc
	global_load_dword v34, v[16:17], off offset:704
	v_add_co_u32_e32 v14, vcc, s14, v14
	v_addc_co_u32_e32 v15, vcc, v15, v6, vcc
	global_load_dword v19, v[14:15], off
	global_load_dword v33, v[0:1], off offset:3712
	v_add_co_u32_e32 v14, vcc, s14, v14
	v_addc_co_u32_e32 v15, vcc, v15, v6, vcc
	global_load_dword v20, v[14:15], off
	;; [unrolled: 4-line block ×3, first 2 shown]
	global_load_dword v28, v107, s[16:17] offset:3584
	v_add_co_u32_e32 v14, vcc, s14, v14
	v_addc_co_u32_e32 v15, vcc, v15, v6, vcc
	s_load_dwordx2 s[12:13], s[4:5], 0x38
	s_load_dwordx4 s[8:11], s[2:3], 0x0
	global_load_dword v23, v[14:15], off
	global_load_dword v27, v[16:17], off offset:2496
	v_add_co_u32_e32 v14, vcc, s14, v14
	v_addc_co_u32_e32 v15, vcc, v15, v6, vcc
	s_movk_i32 s0, 0x6000
	v_add_co_u32_e32 v16, vcc, s0, v29
	global_load_dword v24, v[14:15], off
	v_addc_co_u32_e32 v17, vcc, 0, v30, vcc
	global_load_dword v26, v[16:17], off offset:1408
	global_load_dword v39, v[16:17], off offset:3200
	s_waitcnt vmcnt(21)
	v_lshrrev_b32_e32 v22, 16, v18
	v_mul_f16_sdwa v10, v32, v22 dst_sel:DWORD dst_unused:UNUSED_PAD src0_sel:WORD_1 src1_sel:DWORD
	v_fma_f16 v25, v32, v18, v10
	v_mul_f16_sdwa v18, v32, v18 dst_sel:DWORD dst_unused:UNUSED_PAD src0_sel:WORD_1 src1_sel:DWORD
	v_fma_f16 v18, v32, v22, -v18
	s_waitcnt vmcnt(20)
	v_lshrrev_b32_e32 v22, 16, v8
	buffer_store_dword v32, off, s[24:27], 0 offset:168 ; 4-byte Folded Spill
	global_load_dword v32, v[4:5], off offset:768
	s_waitcnt vmcnt(21)
	v_mul_f16_sdwa v4, v38, v22 dst_sel:DWORD dst_unused:UNUSED_PAD src0_sel:WORD_1 src1_sel:DWORD
	v_mul_f16_sdwa v5, v38, v8 dst_sel:DWORD dst_unused:UNUSED_PAD src0_sel:WORD_1 src1_sel:DWORD
	v_fma_f16 v4, v38, v8, v4
	v_fma_f16 v5, v38, v22, -v5
	v_pack_b32_f16 v4, v4, v5
	ds_write_b32 v107, v4 offset:11200
	s_waitcnt vmcnt(20)
	v_lshrrev_b32_e32 v4, 16, v9
	s_waitcnt vmcnt(19)
	v_mul_f16_sdwa v5, v37, v4 dst_sel:DWORD dst_unused:UNUSED_PAD src0_sel:WORD_1 src1_sel:DWORD
	v_mul_f16_sdwa v8, v37, v9 dst_sel:DWORD dst_unused:UNUSED_PAD src0_sel:WORD_1 src1_sel:DWORD
	v_fma_f16 v5, v37, v9, v5
	v_fma_f16 v4, v37, v4, -v8
	v_pack_b32_f16 v4, v5, v4
	ds_write_b32 v107, v4 offset:22400
	s_waitcnt vmcnt(18)
	v_lshrrev_b32_e32 v4, 16, v11
	v_pack_b32_f16 v18, v25, v18
	v_add_co_u32_e32 v14, vcc, s14, v14
	s_waitcnt vmcnt(17)
	v_mul_f16_sdwa v5, v36, v4 dst_sel:DWORD dst_unused:UNUSED_PAD src0_sel:WORD_1 src1_sel:DWORD
	v_mul_f16_sdwa v8, v36, v11 dst_sel:DWORD dst_unused:UNUSED_PAD src0_sel:WORD_1 src1_sel:DWORD
	v_fma_f16 v5, v36, v11, v5
	v_fma_f16 v4, v36, v4, -v8
	v_pack_b32_f16 v4, v5, v4
	ds_write_b32 v107, v4 offset:33600
	v_addc_co_u32_e32 v15, vcc, v15, v6, vcc
	s_mov_b32 s0, 0x9000
	s_waitcnt vmcnt(16)
	v_lshrrev_b32_e32 v4, 16, v12
	s_waitcnt vmcnt(15)
	v_mul_f16_sdwa v5, v35, v4 dst_sel:DWORD dst_unused:UNUSED_PAD src0_sel:WORD_1 src1_sel:DWORD
	v_mul_f16_sdwa v8, v35, v12 dst_sel:DWORD dst_unused:UNUSED_PAD src0_sel:WORD_1 src1_sel:DWORD
	v_fma_f16 v5, v35, v12, v5
	v_fma_f16 v4, v35, v4, -v8
	v_pack_b32_f16 v4, v5, v4
	ds_write2st64_b32 v107, v18, v4 offset1:7
	global_load_dword v10, v[14:15], off
	s_waitcnt vmcnt(15)
	v_lshrrev_b32_e32 v4, 16, v13
	buffer_store_dword v38, off, s[24:27], 0 offset:156 ; 4-byte Folded Spill
	buffer_store_dword v37, off, s[24:27], 0 offset:152 ; 4-byte Folded Spill
	s_waitcnt vmcnt(16)
	v_mul_f16_sdwa v5, v34, v4 dst_sel:DWORD dst_unused:UNUSED_PAD src0_sel:WORD_1 src1_sel:DWORD
	v_mul_f16_sdwa v8, v34, v13 dst_sel:DWORD dst_unused:UNUSED_PAD src0_sel:WORD_1 src1_sel:DWORD
	v_fma_f16 v5, v34, v13, v5
	v_fma_f16 v4, v34, v4, -v8
	v_pack_b32_f16 v8, v5, v4
	s_waitcnt vmcnt(15)
	v_lshrrev_b32_e32 v4, 16, v19
	s_waitcnt vmcnt(14)
	v_mul_f16_sdwa v5, v33, v4 dst_sel:DWORD dst_unused:UNUSED_PAD src0_sel:WORD_1 src1_sel:DWORD
	v_mul_f16_sdwa v9, v33, v19 dst_sel:DWORD dst_unused:UNUSED_PAD src0_sel:WORD_1 src1_sel:DWORD
	v_fma_f16 v5, v33, v19, v5
	v_fma_f16 v4, v33, v4, -v9
	v_pack_b32_f16 v12, v5, v4
	s_waitcnt vmcnt(13)
	v_lshrrev_b32_e32 v4, 16, v20
	s_waitcnt vmcnt(12)
	v_mul_f16_sdwa v5, v31, v4 dst_sel:DWORD dst_unused:UNUSED_PAD src0_sel:WORD_1 src1_sel:DWORD
	v_mul_f16_sdwa v9, v31, v20 dst_sel:DWORD dst_unused:UNUSED_PAD src0_sel:WORD_1 src1_sel:DWORD
	v_fma_f16 v5, v31, v20, v5
	v_fma_f16 v4, v31, v4, -v9
	v_pack_b32_f16 v18, v5, v4
	v_add_co_u32_e32 v4, vcc, s0, v29
	v_addc_co_u32_e32 v5, vcc, 0, v30, vcc
	global_load_dword v42, v[4:5], off offset:320
	s_waitcnt vmcnt(12)
	v_lshrrev_b32_e32 v9, 16, v21
	s_waitcnt vmcnt(11)
	v_mul_f16_sdwa v11, v28, v9 dst_sel:DWORD dst_unused:UNUSED_PAD src0_sel:WORD_1 src1_sel:DWORD
	v_mul_f16_sdwa v13, v28, v21 dst_sel:DWORD dst_unused:UNUSED_PAD src0_sel:WORD_1 src1_sel:DWORD
	v_fma_f16 v11, v28, v21, v11
	v_fma_f16 v9, v28, v9, -v13
	v_pack_b32_f16 v19, v11, v9
	s_waitcnt vmcnt(10)
	v_lshrrev_b32_e32 v9, 16, v23
	s_waitcnt vmcnt(9)
	v_mul_f16_sdwa v11, v27, v9 dst_sel:DWORD dst_unused:UNUSED_PAD src0_sel:WORD_1 src1_sel:DWORD
	v_mul_f16_sdwa v13, v27, v23 dst_sel:DWORD dst_unused:UNUSED_PAD src0_sel:WORD_1 src1_sel:DWORD
	v_fma_f16 v11, v27, v23, v11
	v_fma_f16 v9, v27, v9, -v13
	v_pack_b32_f16 v11, v11, v9
	v_add_u32_e32 v9, 0xc0, v107
	ds_write2st64_b32 v9, v8, v11 offset0:50 offset1:57
	s_waitcnt vmcnt(8)
	v_lshrrev_b32_e32 v8, 16, v24
	s_waitcnt vmcnt(7)
	v_mul_f16_sdwa v11, v26, v8 dst_sel:DWORD dst_unused:UNUSED_PAD src0_sel:WORD_1 src1_sel:DWORD
	v_mul_f16_sdwa v13, v26, v24 dst_sel:DWORD dst_unused:UNUSED_PAD src0_sel:WORD_1 src1_sel:DWORD
	v_fma_f16 v11, v26, v24, v11
	v_fma_f16 v8, v26, v8, -v13
	v_pack_b32_f16 v8, v11, v8
	v_add_u32_e32 v11, 0x80, v107
	ds_write2st64_b32 v11, v12, v8 offset0:94 offset1:101
	v_add_co_u32_e32 v12, vcc, s18, v14
	v_addc_co_u32_e32 v13, vcc, v15, v7, vcc
	s_movk_i32 s0, 0x1000
	v_add_co_u32_e32 v14, vcc, s0, v29
	global_load_dword v20, v[12:13], off
	v_addc_co_u32_e32 v15, vcc, 0, v30, vcc
	global_load_dword v41, v[14:15], off offset:1280
	v_add_co_u32_e32 v12, vcc, s14, v12
	v_addc_co_u32_e32 v13, vcc, v13, v6, vcc
	s_movk_i32 s0, 0x4000
	v_add_co_u32_e32 v16, vcc, s0, v29
	global_load_dword v21, v[12:13], off
	v_addc_co_u32_e32 v17, vcc, 0, v30, vcc
	global_load_dword v40, v[16:17], off offset:192
	v_add_co_u32_e32 v12, vcc, s14, v12
	v_addc_co_u32_e32 v13, vcc, v13, v6, vcc
	global_load_dword v22, v[12:13], off
	v_add_co_u32_e32 v12, vcc, s14, v12
	buffer_store_dword v36, off, s[24:27], 0 offset:148 ; 4-byte Folded Spill
	buffer_store_dword v35, off, s[24:27], 0 offset:144 ; 4-byte Folded Spill
	;; [unrolled: 1-line block ×8, first 2 shown]
	v_addc_co_u32_e32 v13, vcc, v13, v6, vcc
	global_load_dword v23, v[12:13], off
	global_load_dword v38, v[4:5], off offset:2112
	v_add_co_u32_e32 v12, vcc, s18, v12
	v_addc_co_u32_e32 v13, vcc, v13, v7, vcc
	global_load_dword v24, v[12:13], off
	global_load_dword v37, v[14:15], off offset:3072
	v_add_co_u32_e32 v12, vcc, s14, v12
	;; [unrolled: 4-line block ×3, first 2 shown]
	v_addc_co_u32_e32 v13, vcc, v13, v6, vcc
	s_movk_i32 s0, 0x7000
	global_load_dword v26, v[12:13], off
	v_add_co_u32_e32 v14, vcc, s0, v29
	v_addc_co_u32_e32 v15, vcc, 0, v30, vcc
	global_load_dword v35, v[14:15], off offset:896
	global_load_dword v34, v[4:5], off offset:3904
	v_add_co_u32_e32 v4, vcc, s14, v12
	v_addc_co_u32_e32 v5, vcc, v13, v6, vcc
	global_load_dword v12, v[4:5], off
	s_waitcnt vmcnt(26)
	v_lshrrev_b32_e32 v8, 16, v10
	v_add_co_u32_e32 v4, vcc, s18, v4
	s_waitcnt vmcnt(23)
	v_mul_f16_sdwa v27, v42, v8 dst_sel:DWORD dst_unused:UNUSED_PAD src0_sel:WORD_1 src1_sel:DWORD
	v_addc_co_u32_e32 v5, vcc, v5, v7, vcc
	v_fma_f16 v13, v42, v10, v27
	global_load_dword v27, v[4:5], off
	v_add_co_u32_e32 v4, vcc, s14, v4
	v_addc_co_u32_e32 v5, vcc, v5, v6, vcc
	global_load_dword v28, v[4:5], off
	global_load_dword v33, v[16:17], off offset:3776
	v_add_co_u32_e32 v4, vcc, s14, v4
	v_addc_co_u32_e32 v5, vcc, v5, v6, vcc
	global_load_dword v16, v[4:5], off
	global_load_dword v31, v[14:15], off offset:2688
	v_add_co_u32_e32 v4, vcc, s14, v4
	v_addc_co_u32_e32 v5, vcc, v5, v6, vcc
	v_add_co_u32_e32 v6, vcc, 0xa000, v29
	global_load_dword v14, v[4:5], off
	v_addc_co_u32_e32 v7, vcc, 0, v30, vcc
	buffer_store_dword v29, off, s[24:27], 0 ; 4-byte Folded Spill
	global_load_dword v29, v[6:7], off offset:1600
	v_mul_f16_sdwa v6, v42, v10 dst_sel:DWORD dst_unused:UNUSED_PAD src0_sel:WORD_1 src1_sel:DWORD
	v_fma_f16 v6, v42, v8, -v6
	v_pack_b32_f16 v7, v13, v6
	v_add_u32_e32 v6, 64, v107
	ds_write2st64_b32 v6, v18, v7 offset0:138 offset1:145
	s_waitcnt vmcnt(30)
	v_lshrrev_b32_e32 v7, 16, v20
	s_waitcnt vmcnt(29)
	v_mul_f16_sdwa v8, v41, v7 dst_sel:DWORD dst_unused:UNUSED_PAD src0_sel:WORD_1 src1_sel:DWORD
	v_mul_f16_sdwa v10, v41, v20 dst_sel:DWORD dst_unused:UNUSED_PAD src0_sel:WORD_1 src1_sel:DWORD
	v_fma_f16 v8, v41, v20, v8
	v_fma_f16 v7, v41, v7, -v10
	v_pack_b32_f16 v7, v8, v7
	ds_write2st64_b32 v107, v19, v7 offset0:14 offset1:21
	s_waitcnt vmcnt(28)
	v_lshrrev_b32_e32 v7, 16, v21
	s_waitcnt vmcnt(27)
	v_mul_f16_sdwa v8, v40, v7 dst_sel:DWORD dst_unused:UNUSED_PAD src0_sel:WORD_1 src1_sel:DWORD
	v_mul_f16_sdwa v10, v40, v21 dst_sel:DWORD dst_unused:UNUSED_PAD src0_sel:WORD_1 src1_sel:DWORD
	v_fma_f16 v8, v40, v21, v8
	v_fma_f16 v7, v40, v7, -v10
	v_pack_b32_f16 v7, v8, v7
	s_waitcnt vmcnt(26)
	v_lshrrev_b32_e32 v8, 16, v22
	v_mul_f16_sdwa v10, v39, v8 dst_sel:DWORD dst_unused:UNUSED_PAD src0_sel:WORD_1 src1_sel:DWORD
	v_mul_f16_sdwa v13, v39, v22 dst_sel:DWORD dst_unused:UNUSED_PAD src0_sel:WORD_1 src1_sel:DWORD
	v_fma_f16 v10, v39, v22, v10
	v_fma_f16 v8, v39, v8, -v13
	v_pack_b32_f16 v8, v10, v8
	s_waitcnt vmcnt(17)
	v_lshrrev_b32_e32 v10, 16, v23
	s_waitcnt vmcnt(16)
	v_mul_f16_sdwa v13, v38, v10 dst_sel:DWORD dst_unused:UNUSED_PAD src0_sel:WORD_1 src1_sel:DWORD
	v_mul_f16_sdwa v15, v38, v23 dst_sel:DWORD dst_unused:UNUSED_PAD src0_sel:WORD_1 src1_sel:DWORD
	v_fma_f16 v13, v38, v23, v13
	v_fma_f16 v10, v38, v10, -v15
	v_pack_b32_f16 v10, v13, v10
	s_waitcnt vmcnt(15)
	v_lshrrev_b32_e32 v13, 16, v24
	s_waitcnt vmcnt(14)
	;; [unrolled: 8-line block ×3, first 2 shown]
	v_mul_f16_sdwa v17, v36, v15 dst_sel:DWORD dst_unused:UNUSED_PAD src0_sel:WORD_1 src1_sel:DWORD
	v_mul_f16_sdwa v18, v36, v25 dst_sel:DWORD dst_unused:UNUSED_PAD src0_sel:WORD_1 src1_sel:DWORD
	v_fma_f16 v17, v36, v25, v17
	v_fma_f16 v15, v36, v15, -v18
	v_pack_b32_f16 v15, v17, v15
	ds_write2st64_b32 v9, v7, v15 offset0:64 offset1:71
	s_waitcnt vmcnt(11)
	v_lshrrev_b32_e32 v7, 16, v26
	s_waitcnt vmcnt(10)
	v_mul_f16_sdwa v15, v35, v7 dst_sel:DWORD dst_unused:UNUSED_PAD src0_sel:WORD_1 src1_sel:DWORD
	v_mul_f16_sdwa v17, v35, v26 dst_sel:DWORD dst_unused:UNUSED_PAD src0_sel:WORD_1 src1_sel:DWORD
	v_fma_f16 v15, v35, v26, v15
	v_fma_f16 v7, v35, v7, -v17
	v_pack_b32_f16 v7, v15, v7
	ds_write2st64_b32 v11, v8, v7 offset0:108 offset1:115
	s_waitcnt vmcnt(8)
	v_lshrrev_b32_e32 v7, 16, v12
	v_mul_f16_sdwa v8, v34, v7 dst_sel:DWORD dst_unused:UNUSED_PAD src0_sel:WORD_1 src1_sel:DWORD
	v_fma_f16 v8, v34, v12, v8
	v_mul_f16_sdwa v12, v34, v12 dst_sel:DWORD dst_unused:UNUSED_PAD src0_sel:WORD_1 src1_sel:DWORD
	v_fma_f16 v7, v34, v7, -v12
	v_pack_b32_f16 v7, v8, v7
	ds_write2st64_b32 v6, v10, v7 offset0:152 offset1:159
	s_movk_i32 s0, 0x70
	s_waitcnt vmcnt(7)
	v_lshrrev_b32_e32 v7, 16, v27
	v_mul_f16_sdwa v8, v32, v7 dst_sel:DWORD dst_unused:UNUSED_PAD src0_sel:WORD_1 src1_sel:DWORD
	v_mul_f16_sdwa v10, v32, v27 dst_sel:DWORD dst_unused:UNUSED_PAD src0_sel:WORD_1 src1_sel:DWORD
	v_fma_f16 v8, v32, v27, v8
	v_fma_f16 v7, v32, v7, -v10
	v_pack_b32_f16 v7, v8, v7
	ds_write2st64_b32 v107, v13, v7 offset0:28 offset1:35
	s_waitcnt vmcnt(6)
	v_lshrrev_b32_e32 v7, 16, v28
	s_waitcnt vmcnt(5)
	v_mul_f16_sdwa v8, v33, v7 dst_sel:DWORD dst_unused:UNUSED_PAD src0_sel:WORD_1 src1_sel:DWORD
	v_mul_f16_sdwa v10, v33, v28 dst_sel:DWORD dst_unused:UNUSED_PAD src0_sel:WORD_1 src1_sel:DWORD
	v_fma_f16 v8, v33, v28, v8
	v_fma_f16 v7, v33, v7, -v10
	v_pack_b32_f16 v7, v8, v7
	ds_write_b32 v107, v7 offset:20160
	s_waitcnt vmcnt(4)
	v_lshrrev_b32_e32 v7, 16, v16
	s_waitcnt vmcnt(3)
	v_mul_f16_sdwa v8, v31, v7 dst_sel:DWORD dst_unused:UNUSED_PAD src0_sel:WORD_1 src1_sel:DWORD
	v_mul_f16_sdwa v10, v31, v16 dst_sel:DWORD dst_unused:UNUSED_PAD src0_sel:WORD_1 src1_sel:DWORD
	v_fma_f16 v8, v31, v16, v8
	v_fma_f16 v7, v31, v7, -v10
	v_pack_b32_f16 v7, v8, v7
	ds_write_b32 v107, v7 offset:31360
	s_waitcnt vmcnt(2)
	v_lshrrev_b32_e32 v7, 16, v14
	s_waitcnt vmcnt(0)
	v_mul_f16_sdwa v8, v29, v7 dst_sel:DWORD dst_unused:UNUSED_PAD src0_sel:WORD_1 src1_sel:DWORD
	v_mul_f16_sdwa v10, v29, v14 dst_sel:DWORD dst_unused:UNUSED_PAD src0_sel:WORD_1 src1_sel:DWORD
	v_fma_f16 v8, v29, v14, v8
	v_fma_f16 v7, v29, v7, -v10
	v_pack_b32_f16 v7, v8, v7
	v_cmp_gt_u16_e64 s[0:1], s0, v68
	buffer_store_dword v30, off, s[24:27], 0 offset:64 ; 4-byte Folded Spill
	buffer_store_dword v42, off, s[24:27], 0 offset:120 ; 4-byte Folded Spill
	;; [unrolled: 1-line block ×14, first 2 shown]
	ds_write_b32 v107, v7 offset:42560
	s_and_saveexec_b64 s[2:3], s[0:1]
	s_cbranch_execz .LBB0_3
; %bb.2:
	buffer_load_dword v16, off, s[24:27], 0 ; 4-byte Folded Reload
	buffer_load_dword v17, off, s[24:27], 0 offset:64 ; 4-byte Folded Reload
	v_mov_b32_e32 v7, s19
	v_add_co_u32_e32 v4, vcc, s18, v4
	v_addc_co_u32_e32 v5, vcc, v5, v7, vcc
	global_load_dword v10, v[4:5], off
	s_waitcnt vmcnt(2)
	v_add_co_u32_e32 v7, vcc, 0x2000, v16
	s_waitcnt vmcnt(1)
	v_addc_co_u32_e32 v8, vcc, 0, v17, vcc
	global_load_dword v7, v[7:8], off offset:2560
	v_mov_b32_e32 v8, s15
	v_add_co_u32_e32 v4, vcc, s14, v4
	v_addc_co_u32_e32 v5, vcc, v5, v8, vcc
	global_load_dword v12, v[4:5], off
	v_add_co_u32_e32 v4, vcc, s14, v4
	v_addc_co_u32_e32 v5, vcc, v5, v8, vcc
	global_load_dword v13, v[4:5], off
	global_load_dword v14, v[0:1], off offset:1472
	global_load_dword v15, v[2:3], off offset:384
	v_add_co_u32_e32 v0, vcc, s14, v4
	v_addc_co_u32_e32 v1, vcc, v5, v8, vcc
	global_load_dword v2, v[0:1], off
	v_add_co_u32_e32 v0, vcc, 0xa000, v16
	v_addc_co_u32_e32 v1, vcc, 0, v17, vcc
	global_load_dword v0, v[0:1], off offset:3392
	s_waitcnt vmcnt(7)
	v_lshrrev_b32_e32 v1, 16, v10
	s_waitcnt vmcnt(6)
	v_mul_f16_sdwa v3, v7, v10 dst_sel:DWORD dst_unused:UNUSED_PAD src0_sel:WORD_1 src1_sel:DWORD
	v_mul_f16_sdwa v4, v7, v1 dst_sel:DWORD dst_unused:UNUSED_PAD src0_sel:WORD_1 src1_sel:DWORD
	v_fma_f16 v1, v7, v1, -v3
	v_fma_f16 v4, v7, v10, v4
	v_pack_b32_f16 v1, v4, v1
	ds_write_b32 v107, v1 offset:10752
	s_waitcnt vmcnt(5)
	v_lshrrev_b32_e32 v3, 16, v12
	s_waitcnt vmcnt(3)
	v_mul_f16_sdwa v5, v14, v12 dst_sel:DWORD dst_unused:UNUSED_PAD src0_sel:WORD_1 src1_sel:DWORD
	v_mul_f16_sdwa v7, v14, v3 dst_sel:DWORD dst_unused:UNUSED_PAD src0_sel:WORD_1 src1_sel:DWORD
	v_fma_f16 v3, v14, v3, -v5
	v_lshrrev_b32_e32 v5, 16, v13
	s_waitcnt vmcnt(2)
	v_mul_f16_sdwa v8, v15, v13 dst_sel:DWORD dst_unused:UNUSED_PAD src0_sel:WORD_1 src1_sel:DWORD
	v_fma_f16 v4, v14, v12, v7
	v_mul_f16_sdwa v7, v15, v5 dst_sel:DWORD dst_unused:UNUSED_PAD src0_sel:WORD_1 src1_sel:DWORD
	v_fma_f16 v5, v15, v5, -v8
	s_waitcnt vmcnt(1)
	v_lshrrev_b32_e32 v8, 16, v2
	v_pack_b32_f16 v1, v4, v3
	v_fma_f16 v3, v15, v13, v7
	s_waitcnt vmcnt(0)
	v_mul_f16_sdwa v10, v0, v2 dst_sel:DWORD dst_unused:UNUSED_PAD src0_sel:WORD_1 src1_sel:DWORD
	v_mul_f16_sdwa v4, v0, v8 dst_sel:DWORD dst_unused:UNUSED_PAD src0_sel:WORD_1 src1_sel:DWORD
	v_fma_f16 v7, v0, v8, -v10
	v_fma_f16 v0, v0, v2, v4
	ds_write_b32 v107, v1 offset:21952
	v_pack_b32_f16 v1, v3, v5
	v_pack_b32_f16 v0, v0, v7
	ds_write_b32 v107, v1 offset:33152
	ds_write_b32 v107, v0 offset:44352
.LBB0_3:
	s_or_b64 exec, exec, s[2:3]
	s_waitcnt vmcnt(0) lgkmcnt(0)
	s_barrier
	ds_read2st64_b32 v[18:19], v107 offset1:7
	ds_read2st64_b32 v[20:21], v9 offset0:43 offset1:50
	ds_read2st64_b32 v[22:23], v11 offset0:87 offset1:94
	ds_read2st64_b32 v[24:25], v6 offset0:131 offset1:138
	ds_read2st64_b32 v[7:8], v107 offset0:14 offset1:21
	ds_read2st64_b32 v[12:13], v9 offset0:57 offset1:64
	ds_read2st64_b32 v[14:15], v11 offset0:101 offset1:108
	ds_read2st64_b32 v[16:17], v6 offset0:145 offset1:152
	ds_read2st64_b32 v[0:1], v107 offset0:28 offset1:35
	ds_read2st64_b32 v[2:3], v9 offset0:71 offset1:78
	ds_read2st64_b32 v[4:5], v11 offset0:115 offset1:122
	ds_read2st64_b32 v[9:10], v6 offset0:159 offset1:166
                                        ; implicit-def: $vgpr26
                                        ; implicit-def: $vgpr27
                                        ; implicit-def: $vgpr6
                                        ; implicit-def: $vgpr28
	s_and_saveexec_b64 s[2:3], s[0:1]
	s_cbranch_execz .LBB0_5
; %bb.4:
	ds_read_b32 v6, v107 offset:21952
	ds_read_b32 v27, v107 offset:33152
	ds_read_b32 v26, v107 offset:10752
	ds_read_b32 v28, v107 offset:44352
.LBB0_5:
	s_or_b64 exec, exec, s[2:3]
	s_waitcnt lgkmcnt(9)
	v_pk_add_f16 v22, v18, v22 neg_lo:[0,1] neg_hi:[0,1]
	s_waitcnt lgkmcnt(8)
	v_pk_add_f16 v24, v20, v24 neg_lo:[0,1] neg_hi:[0,1]
	v_lshrrev_b32_e32 v11, 16, v22
	s_waitcnt lgkmcnt(1)
	v_pk_add_f16 v59, v0, v4 neg_lo:[0,1] neg_hi:[0,1]
	v_add_f16_e32 v31, v11, v24
	v_pk_add_f16 v34, v19, v23 neg_lo:[0,1] neg_hi:[0,1]
	s_waitcnt lgkmcnt(0)
	v_pk_add_f16 v60, v2, v9 neg_lo:[0,1] neg_hi:[0,1]
	v_lshrrev_b32_e32 v4, 16, v59
	v_fma_f16 v33, v11, 2.0, -v31
	v_pk_add_f16 v43, v21, v25 neg_lo:[0,1] neg_hi:[0,1]
	v_lshrrev_b32_e32 v11, 16, v34
	v_add_f16_e32 v62, v4, v60
	v_add_f16_e32 v46, v11, v43
	v_pk_add_f16 v14, v7, v14 neg_lo:[0,1] neg_hi:[0,1]
	v_fma_f16 v64, v4, 2.0, -v62
	v_pk_add_f16 v4, v1, v5 neg_lo:[0,1] neg_hi:[0,1]
	v_pk_add_f16 v5, v3, v10 neg_lo:[0,1] neg_hi:[0,1]
	v_fma_f16 v48, v11, 2.0, -v46
	v_pk_add_f16 v16, v12, v16 neg_lo:[0,1] neg_hi:[0,1]
	v_lshrrev_b32_e32 v11, 16, v14
	v_pk_fma_f16 v10, v1, 2.0, v4 op_sel_hi:[1,0,1] neg_lo:[0,0,1] neg_hi:[0,0,1]
	v_pk_fma_f16 v1, v3, 2.0, v5 op_sel_hi:[1,0,1] neg_lo:[0,0,1] neg_hi:[0,0,1]
	v_add_f16_e32 v50, v11, v16
	v_pk_add_f16 v53, v8, v15 neg_lo:[0,1] neg_hi:[0,1]
	v_pk_add_f16 v9, v10, v1 neg_lo:[0,1] neg_hi:[0,1]
	v_lshrrev_b32_e32 v1, 16, v4
	v_fma_f16 v52, v11, 2.0, -v50
	v_pk_add_f16 v54, v13, v17 neg_lo:[0,1] neg_hi:[0,1]
	v_lshrrev_b32_e32 v11, 16, v53
	v_add_f16_e32 v41, v1, v5
	v_add_f16_e32 v56, v11, v54
	v_sub_f16_sdwa v15, v4, v5 dst_sel:DWORD dst_unused:UNUSED_PAD src0_sel:DWORD src1_sel:WORD_1
	v_fma_f16 v35, v1, 2.0, -v41
	v_pk_add_f16 v1, v26, v27 neg_lo:[0,1] neg_hi:[0,1]
	v_pk_add_f16 v3, v6, v28 neg_lo:[0,1] neg_hi:[0,1]
	v_fma_f16 v58, v11, 2.0, -v56
	v_fma_f16 v11, v4, 2.0, -v15
	v_pk_fma_f16 v4, v26, 2.0, v1 op_sel_hi:[1,0,1] neg_lo:[0,0,1] neg_hi:[0,0,1]
	v_pk_fma_f16 v5, v6, 2.0, v3 op_sel_hi:[1,0,1] neg_lo:[0,0,1] neg_hi:[0,0,1]
	v_pk_add_f16 v6, v4, v5 neg_lo:[0,1] neg_hi:[0,1]
	v_sub_f16_sdwa v39, v1, v3 dst_sel:DWORD dst_unused:UNUSED_PAD src0_sel:DWORD src1_sel:WORD_1
	v_lshrrev_b32_e32 v5, 16, v1
	v_add_f16_e32 v40, v3, v5
	v_fma_f16 v17, v1, 2.0, -v39
	v_pk_fma_f16 v1, v18, 2.0, v22 op_sel_hi:[1,0,1] neg_lo:[0,0,1] neg_hi:[0,0,1]
	v_pk_fma_f16 v3, v20, 2.0, v24 op_sel_hi:[1,0,1] neg_lo:[0,0,1] neg_hi:[0,0,1]
	v_sub_f16_sdwa v30, v22, v24 dst_sel:DWORD dst_unused:UNUSED_PAD src0_sel:DWORD src1_sel:WORD_1
	v_pk_add_f16 v24, v1, v3 neg_lo:[0,1] neg_hi:[0,1]
	v_fma_f16 v32, v22, 2.0, -v30
	v_sub_f16_sdwa v45, v34, v43 dst_sel:DWORD dst_unused:UNUSED_PAD src0_sel:DWORD src1_sel:WORD_1
	v_pk_fma_f16 v22, v1, 2.0, v24 op_sel_hi:[1,0,1] neg_lo:[0,0,1] neg_hi:[0,0,1]
	v_pk_fma_f16 v1, v19, 2.0, v34 op_sel_hi:[1,0,1] neg_lo:[0,0,1] neg_hi:[0,0,1]
	;; [unrolled: 1-line block ×3, first 2 shown]
	v_add_co_u32_e32 v44, vcc, 0x1c0, v68
	v_fma_f16 v47, v34, 2.0, -v45
	v_pk_add_f16 v20, v1, v3 neg_lo:[0,1] neg_hi:[0,1]
	s_movk_i32 s2, 0x380
	v_lshlrev_b32_e32 v65, 4, v68
	v_sub_f16_sdwa v49, v14, v16 dst_sel:DWORD dst_unused:UNUSED_PAD src0_sel:DWORD src1_sel:WORD_1
	v_fma_f16 v42, v5, 2.0, -v40
	v_pack_b32_f16 v25, v30, v31
	v_pack_b32_f16 v23, v32, v33
	v_lshlrev_b32_e32 v5, 4, v44
	v_pk_fma_f16 v18, v1, 2.0, v20 op_sel_hi:[1,0,1] neg_lo:[0,0,1] neg_hi:[0,0,1]
	v_pack_b32_f16 v21, v45, v46
	v_pack_b32_f16 v19, v47, v48
	v_pk_fma_f16 v1, v7, 2.0, v14 op_sel_hi:[1,0,1] neg_lo:[0,0,1] neg_hi:[0,0,1]
	v_pk_fma_f16 v3, v12, 2.0, v16 op_sel_hi:[1,0,1] neg_lo:[0,0,1] neg_hi:[0,0,1]
	v_add_co_u32_e32 v38, vcc, s2, v68
	v_fma_f16 v51, v14, 2.0, -v49
	s_barrier
	ds_write_b128 v65, v[22:25]
	ds_write_b128 v5, v[18:21]
	v_pk_add_f16 v20, v1, v3 neg_lo:[0,1] neg_hi:[0,1]
	buffer_store_dword v5, off, s[24:27], 0 offset:180 ; 4-byte Folded Spill
	v_lshlrev_b32_e32 v5, 4, v38
	v_pk_fma_f16 v18, v1, 2.0, v20 op_sel_hi:[1,0,1] neg_lo:[0,0,1] neg_hi:[0,0,1]
	v_pack_b32_f16 v21, v49, v50
	v_pack_b32_f16 v19, v51, v52
	v_pk_fma_f16 v1, v8, 2.0, v53 op_sel_hi:[1,0,1] neg_lo:[0,0,1] neg_hi:[0,0,1]
	v_pk_fma_f16 v3, v13, 2.0, v54 op_sel_hi:[1,0,1] neg_lo:[0,0,1] neg_hi:[0,0,1]
	s_load_dwordx2 s[14:15], s[4:5], 0x8
	s_movk_i32 s2, 0x540
	v_sub_f16_sdwa v55, v53, v54 dst_sel:DWORD dst_unused:UNUSED_PAD src0_sel:DWORD src1_sel:WORD_1
	ds_write_b128 v5, v[18:21]
	v_pk_add_f16 v20, v1, v3 neg_lo:[0,1] neg_hi:[0,1]
	v_add_co_u32_e32 v37, vcc, s2, v68
	s_movk_i32 s2, 0x700
	v_fma_f16 v57, v53, 2.0, -v55
	v_sub_f16_sdwa v61, v59, v60 dst_sel:DWORD dst_unused:UNUSED_PAD src0_sel:DWORD src1_sel:WORD_1
	v_pk_fma_f16 v18, v1, 2.0, v20 op_sel_hi:[1,0,1] neg_lo:[0,0,1] neg_hi:[0,0,1]
	v_pk_fma_f16 v0, v0, 2.0, v59 op_sel_hi:[1,0,1] neg_lo:[0,0,1] neg_hi:[0,0,1]
	;; [unrolled: 1-line block ×3, first 2 shown]
	v_add_co_u32_e32 v36, vcc, s2, v68
	s_movk_i32 s2, 0xa80
	v_fma_f16 v63, v59, 2.0, -v61
	buffer_store_dword v5, off, s[24:27], 0 offset:184 ; 4-byte Folded Spill
	v_lshlrev_b32_e32 v5, 4, v37
	v_pack_b32_f16 v21, v55, v56
	v_pack_b32_f16 v19, v57, v58
	v_pk_add_f16 v2, v0, v1 neg_lo:[0,1] neg_hi:[0,1]
	v_add_co_u32_e32 v29, vcc, s2, v68
	buffer_store_dword v5, off, s[24:27], 0 offset:188 ; 4-byte Folded Spill
	ds_write_b128 v5, v[18:21]
	v_lshlrev_b32_e32 v5, 4, v36
	v_pk_fma_f16 v0, v0, 2.0, v2 op_sel_hi:[1,0,1] neg_lo:[0,0,1] neg_hi:[0,0,1]
	v_pack_b32_f16 v3, v61, v62
	v_pack_b32_f16 v1, v63, v64
	v_pk_fma_f16 v4, v4, 2.0, v6 op_sel_hi:[1,0,1] neg_lo:[0,0,1] neg_hi:[0,0,1]
	ds_write_b128 v5, v[0:3]
	v_pk_fma_f16 v7, v10, 2.0, v9 op_sel_hi:[1,0,1] neg_lo:[0,0,1] neg_hi:[0,0,1]
	v_pack_b32_f16 v10, v15, v41
	v_pack_b32_f16 v8, v11, v35
	v_lshlrev_b32_e32 v0, 4, v29
	buffer_store_dword v5, off, s[24:27], 0 offset:12 ; 4-byte Folded Spill
	buffer_store_dword v65, off, s[24:27], 0 offset:8 ; 4-byte Folded Spill
	ds_write_b128 v65, v[7:10] offset:35840
	buffer_store_dword v0, off, s[24:27], 0 offset:176 ; 4-byte Folded Spill
	s_and_saveexec_b64 s[2:3], s[0:1]
	s_cbranch_execz .LBB0_7
; %bb.6:
	buffer_load_dword v0, off, s[24:27], 0 offset:176 ; 4-byte Folded Reload
	s_mov_b32 s4, 0x5040100
	v_perm_b32 v7, v40, v39, s4
	v_perm_b32 v5, v42, v17, s4
	s_waitcnt vmcnt(0)
	ds_write_b128 v0, v[4:7]
.LBB0_7:
	s_or_b64 exec, exec, s[2:3]
	s_waitcnt vmcnt(0) lgkmcnt(0)
	s_barrier
	ds_read2st64_b32 v[13:14], v107 offset1:7
	ds_read2st64_b32 v[7:8], v107 offset0:14 offset1:25
	ds_read2st64_b32 v[23:24], v107 offset0:50 offset1:57
	;; [unrolled: 1-line block ×9, first 2 shown]
	ds_read_b32 v5, v107 offset:41984
	s_movk_i32 s2, 0x100
	v_cmp_gt_u16_e64 s[2:3], s2, v68
	s_and_saveexec_b64 s[4:5], s[2:3]
	s_cbranch_execz .LBB0_9
; %bb.8:
	ds_read2st64_b32 v[11:12], v107 offset0:21 offset1:46
	ds_read2st64_b32 v[15:16], v107 offset0:71 offset1:96
	;; [unrolled: 1-line block ×3, first 2 shown]
	ds_read_b32 v39, v107 offset:43776
	s_waitcnt lgkmcnt(3)
	v_lshrrev_b32_e32 v35, 16, v11
	s_waitcnt lgkmcnt(2)
	v_lshrrev_b32_e32 v41, 16, v15
	;; [unrolled: 2-line block ×4, first 2 shown]
	v_mov_b32_e32 v6, v18
	v_mov_b32_e32 v4, v16
	;; [unrolled: 1-line block ×3, first 2 shown]
.LBB0_9:
	s_or_b64 exec, exec, s[4:5]
	v_and_b32_e32 v92, 3, v68
	v_mul_u32_u24_e32 v0, 6, v92
	v_lshlrev_b32_e32 v10, 2, v0
	global_load_dwordx4 v[0:3], v10, s[14:15]
	global_load_dwordx2 v[79:80], v10, s[14:15] offset:16
	s_waitcnt lgkmcnt(9)
	v_lshrrev_b32_e32 v10, 16, v8
	s_waitcnt lgkmcnt(6)
	v_lshrrev_b32_e32 v18, 16, v27
	;; [unrolled: 2-line block ×5, first 2 shown]
	v_lshrrev_b32_e32 v12, 16, v23
	v_lshrrev_b32_e32 v16, 16, v20
	;; [unrolled: 1-line block ×5, first 2 shown]
	v_mov_b32_e32 v91, v68
	v_lshrrev_b32_e32 v46, 16, v33
	v_lshrrev_b32_e32 v47, 16, v24
	;; [unrolled: 1-line block ×4, first 2 shown]
	s_movk_i32 s5, 0x2b26
	s_mov_b32 s16, 0xbcab
	s_movk_i32 s18, 0x39e0
	s_mov_b32 s20, 0xb9e0
	;; [unrolled: 2-line block ×3, first 2 shown]
	v_lshrrev_b32_e32 v48, 16, v29
	v_lshrrev_b32_e32 v49, 16, v28
	s_movk_i32 s4, 0x3b00
	s_movk_i32 s19, 0x370e
	v_lshrrev_b32_e32 v52, 16, v34
	v_lshrrev_b32_e32 v54, 16, v30
	s_waitcnt vmcnt(0)
	s_barrier
	buffer_store_dword v91, off, s[24:27], 0 offset:4 ; 4-byte Folded Spill
	buffer_store_dword v92, off, s[24:27], 0 offset:172 ; 4-byte Folded Spill
	v_mul_f16_sdwa v58, v10, v0 dst_sel:DWORD dst_unused:UNUSED_PAD src0_sel:DWORD src1_sel:WORD_1
	v_mul_f16_sdwa v59, v8, v0 dst_sel:DWORD dst_unused:UNUSED_PAD src0_sel:DWORD src1_sel:WORD_1
	;; [unrolled: 1-line block ×4, first 2 shown]
	v_fma_f16 v58, v8, v0, -v58
	v_mul_f16_sdwa v8, v21, v3 dst_sel:DWORD dst_unused:UNUSED_PAD src0_sel:DWORD src1_sel:WORD_1
	v_mul_f16_sdwa v65, v27, v3 dst_sel:DWORD dst_unused:UNUSED_PAD src0_sel:DWORD src1_sel:WORD_1
	v_fma_f16 v27, v27, v3, -v64
	v_fma_f16 v64, v21, v3, -v90
	v_fma_f16 v21, v55, v3, v8
	v_mul_f16_sdwa v8, v56, v79 dst_sel:DWORD dst_unused:UNUSED_PAD src0_sel:DWORD src1_sel:WORD_1
	v_fma_f16 v55, v26, v79, -v8
	v_mul_f16_sdwa v8, v26, v79 dst_sel:DWORD dst_unused:UNUSED_PAD src0_sel:DWORD src1_sel:WORD_1
	v_fma_f16 v26, v56, v79, v8
	v_mul_f16_sdwa v8, v57, v80 dst_sel:DWORD dst_unused:UNUSED_PAD src0_sel:DWORD src1_sel:WORD_1
	v_fma_f16 v56, v5, v80, -v8
	v_mul_f16_sdwa v5, v5, v80 dst_sel:DWORD dst_unused:UNUSED_PAD src0_sel:DWORD src1_sel:WORD_1
	v_fma_f16 v57, v57, v80, v5
	v_lshrrev_b32_e32 v5, 16, v9
	v_mul_f16_sdwa v8, v5, v0 dst_sel:DWORD dst_unused:UNUSED_PAD src0_sel:DWORD src1_sel:WORD_1
	v_fma_f16 v8, v9, v0, -v8
	v_mul_f16_sdwa v9, v9, v0 dst_sel:DWORD dst_unused:UNUSED_PAD src0_sel:DWORD src1_sel:WORD_1
	v_fma_f16 v59, v10, v0, v59
	v_fma_f16 v10, v5, v0, v9
	v_mul_f16_sdwa v5, v41, v1 dst_sel:DWORD dst_unused:UNUSED_PAD src0_sel:DWORD src1_sel:WORD_1
	v_mul_f16_sdwa v60, v12, v1 dst_sel:DWORD dst_unused:UNUSED_PAD src0_sel:DWORD src1_sel:WORD_1
	;; [unrolled: 1-line block ×3, first 2 shown]
	v_fma_f16 v9, v15, v1, -v5
	v_mul_f16_sdwa v5, v15, v1 dst_sel:DWORD dst_unused:UNUSED_PAD src0_sel:DWORD src1_sel:WORD_1
	v_fma_f16 v23, v23, v1, -v60
	v_fma_f16 v60, v12, v1, v61
	v_fma_f16 v12, v41, v1, v5
	v_lshrrev_b32_e32 v5, 16, v4
	v_mul_f16_sdwa v15, v5, v2 dst_sel:DWORD dst_unused:UNUSED_PAD src0_sel:DWORD src1_sel:WORD_1
	v_mul_f16_sdwa v63, v20, v2 dst_sel:DWORD dst_unused:UNUSED_PAD src0_sel:DWORD src1_sel:WORD_1
	v_fma_f16 v15, v4, v2, -v15
	v_mul_f16_sdwa v4, v4, v2 dst_sel:DWORD dst_unused:UNUSED_PAD src0_sel:DWORD src1_sel:WORD_1
	v_mul_f16_sdwa v62, v16, v2 dst_sel:DWORD dst_unused:UNUSED_PAD src0_sel:DWORD src1_sel:WORD_1
	v_fma_f16 v61, v16, v2, v63
	v_fma_f16 v16, v5, v2, v4
	v_mul_f16_sdwa v4, v42, v3 dst_sel:DWORD dst_unused:UNUSED_PAD src0_sel:DWORD src1_sel:WORD_1
	v_fma_f16 v20, v20, v2, -v62
	v_fma_f16 v62, v18, v3, v65
	v_fma_f16 v18, v17, v3, -v4
	v_mul_f16_sdwa v4, v17, v3 dst_sel:DWORD dst_unused:UNUSED_PAD src0_sel:DWORD src1_sel:WORD_1
	v_fma_f16 v17, v42, v3, v4
	v_lshrrev_b32_e32 v4, 16, v6
	v_mul_f16_sdwa v86, v53, v1 dst_sel:DWORD dst_unused:UNUSED_PAD src0_sel:DWORD src1_sel:WORD_1
	v_mul_f16_sdwa v5, v4, v79 dst_sel:DWORD dst_unused:UNUSED_PAD src0_sel:DWORD src1_sel:WORD_1
	;; [unrolled: 1-line block ×3, first 2 shown]
	v_fma_f16 v63, v19, v1, -v86
	v_fma_f16 v19, v6, v79, -v5
	v_mul_f16_sdwa v5, v6, v79 dst_sel:DWORD dst_unused:UNUSED_PAD src0_sel:DWORD src1_sel:WORD_1
	v_mul_f16_sdwa v66, v43, v79 dst_sel:DWORD dst_unused:UNUSED_PAD src0_sel:DWORD src1_sel:WORD_1
	v_mul_f16_sdwa v67, v22, v79 dst_sel:DWORD dst_unused:UNUSED_PAD src0_sel:DWORD src1_sel:WORD_1
	v_mul_f16_sdwa v68, v45, v80 dst_sel:DWORD dst_unused:UNUSED_PAD src0_sel:DWORD src1_sel:WORD_1
	v_mul_f16_sdwa v69, v31, v80 dst_sel:DWORD dst_unused:UNUSED_PAD src0_sel:DWORD src1_sel:WORD_1
	v_fma_f16 v6, v4, v79, v5
	v_mul_f16_sdwa v4, v40, v80 dst_sel:DWORD dst_unused:UNUSED_PAD src0_sel:DWORD src1_sel:WORD_1
	v_fma_f16 v22, v22, v79, -v66
	v_fma_f16 v43, v43, v79, v67
	v_fma_f16 v31, v31, v80, -v68
	v_fma_f16 v45, v45, v80, v69
	v_fma_f16 v41, v39, v80, -v4
	v_mul_f16_sdwa v4, v39, v80 dst_sel:DWORD dst_unused:UNUSED_PAD src0_sel:DWORD src1_sel:WORD_1
	v_fma_f16 v39, v40, v80, v4
	v_add_f16_e32 v4, v58, v31
	v_add_f16_e32 v5, v59, v45
	v_sub_f16_e32 v40, v59, v45
	v_add_f16_e32 v42, v23, v22
	v_add_f16_e32 v45, v60, v43
	v_sub_f16_e32 v31, v58, v31
	v_sub_f16_e32 v22, v23, v22
	;; [unrolled: 1-line block ×3, first 2 shown]
	v_add_f16_e32 v43, v20, v27
	v_add_f16_e32 v58, v61, v62
	v_sub_f16_e32 v20, v27, v20
	v_sub_f16_e32 v27, v62, v61
	v_add_f16_e32 v59, v42, v4
	v_add_f16_e32 v60, v45, v5
	v_sub_f16_e32 v61, v42, v4
	v_sub_f16_e32 v62, v45, v5
	;; [unrolled: 1-line block ×6, first 2 shown]
	v_add_f16_e32 v4, v20, v22
	v_add_f16_e32 v5, v27, v23
	v_sub_f16_e32 v67, v20, v22
	v_sub_f16_e32 v68, v27, v23
	;; [unrolled: 1-line block ×4, first 2 shown]
	v_add_f16_e32 v43, v43, v59
	v_add_f16_e32 v58, v58, v60
	v_sub_f16_e32 v20, v31, v20
	v_sub_f16_e32 v27, v40, v27
	v_add_f16_e32 v31, v4, v31
	v_add_f16_e32 v40, v5, v40
	;; [unrolled: 1-line block ×3, first 2 shown]
	v_add_f16_sdwa v5, v13, v58 dst_sel:DWORD dst_unused:UNUSED_PAD src0_sel:WORD_1 src1_sel:DWORD
	v_mul_f16_e32 v13, 0x3a52, v65
	v_mul_f16_e32 v59, 0x3a52, v66
	v_mul_f16_e32 v60, 0x2b26, v42
	v_mul_f16_e32 v65, 0x2b26, v45
	v_mul_f16_e32 v66, 0xb846, v67
	v_mul_f16_e32 v67, 0xb846, v68
	v_mul_f16_e32 v68, 0x3b00, v22
	v_mul_f16_e32 v69, 0x3b00, v23
	v_mul_f16_sdwa v70, v46, v0 dst_sel:DWORD dst_unused:UNUSED_PAD src0_sel:DWORD src1_sel:WORD_1
	v_mul_f16_sdwa v71, v33, v0 dst_sel:DWORD dst_unused:UNUSED_PAD src0_sel:DWORD src1_sel:WORD_1
	;; [unrolled: 1-line block ×8, first 2 shown]
	v_fma_f16 v43, v43, s16, v4
	v_fma_f16 v58, v58, s16, v5
	;; [unrolled: 1-line block ×4, first 2 shown]
	v_fma_f16 v60, v61, s18, -v60
	v_fma_f16 v65, v62, s18, -v65
	;; [unrolled: 1-line block ×4, first 2 shown]
	v_fma_f16 v61, v20, s21, v66
	v_fma_f16 v62, v27, s21, v67
	v_fma_f16 v20, v20, s22, -v68
	v_fma_f16 v27, v27, s22, -v69
	v_mul_f16_sdwa v74, v48, v2 dst_sel:DWORD dst_unused:UNUSED_PAD src0_sel:DWORD src1_sel:WORD_1
	v_mul_f16_sdwa v75, v29, v2 dst_sel:DWORD dst_unused:UNUSED_PAD src0_sel:DWORD src1_sel:WORD_1
	;; [unrolled: 1-line block ×4, first 2 shown]
	v_fma_f16 v33, v33, v0, -v70
	v_fma_f16 v46, v46, v0, v71
	v_fma_f16 v24, v24, v1, -v72
	v_fma_f16 v47, v47, v1, v73
	;; [unrolled: 2-line block ×4, first 2 shown]
	v_fma_f16 v23, v23, s4, -v67
	v_add_f16_e32 v42, v42, v43
	v_add_f16_e32 v45, v45, v58
	;; [unrolled: 1-line block ×6, first 2 shown]
	v_fma_f16 v58, v31, s19, v61
	v_fma_f16 v20, v31, s19, v20
	;; [unrolled: 1-line block ×3, first 2 shown]
	v_fma_f16 v29, v29, v2, -v74
	v_fma_f16 v48, v48, v2, v75
	v_fma_f16 v28, v28, v3, -v76
	v_fma_f16 v49, v49, v3, v77
	;; [unrolled: 2-line block ×3, first 2 shown]
	v_fma_f16 v23, v40, s19, v23
	v_sub_f16_e32 v40, v45, v58
	v_add_f16_e32 v61, v27, v13
	v_sub_f16_e32 v62, v43, v20
	v_sub_f16_e32 v27, v13, v27
	v_add_f16_e32 v20, v20, v43
	v_add_f16_e32 v43, v58, v45
	;; [unrolled: 1-line block ×4, first 2 shown]
	v_sub_f16_e32 v32, v33, v32
	v_sub_f16_e32 v33, v46, v51
	v_add_f16_e32 v46, v24, v25
	v_add_f16_e32 v51, v47, v50
	v_fma_f16 v22, v31, s19, v22
	v_sub_f16_e32 v24, v24, v25
	v_sub_f16_e32 v25, v47, v50
	v_add_f16_e32 v47, v29, v28
	v_add_f16_e32 v50, v48, v49
	v_sub_f16_e32 v28, v28, v29
	v_sub_f16_e32 v29, v49, v48
	v_add_f16_e32 v48, v46, v13
	v_add_f16_e32 v49, v51, v45
	;; [unrolled: 1-line block ×3, first 2 shown]
	v_sub_f16_e32 v66, v60, v23
	v_add_f16_e32 v67, v22, v65
	v_add_f16_e32 v23, v23, v60
	v_sub_f16_e32 v22, v65, v22
	v_sub_f16_e32 v42, v42, v59
	;; [unrolled: 1-line block ×8, first 2 shown]
	v_add_f16_e32 v60, v28, v24
	v_add_f16_e32 v65, v29, v25
	v_sub_f16_e32 v68, v28, v24
	v_sub_f16_e32 v69, v29, v25
	;; [unrolled: 1-line block ×4, first 2 shown]
	v_add_f16_e32 v47, v47, v48
	v_add_f16_e32 v48, v50, v49
	v_sub_f16_e32 v28, v32, v28
	v_sub_f16_e32 v29, v33, v29
	v_add_f16_e32 v32, v60, v32
	v_add_f16_e32 v33, v65, v33
	;; [unrolled: 1-line block ×3, first 2 shown]
	v_add_f16_sdwa v65, v14, v48 dst_sel:DWORD dst_unused:UNUSED_PAD src0_sel:WORD_1 src1_sel:DWORD
	v_mul_f16_e32 v13, 0x3a52, v13
	v_mul_f16_e32 v14, 0x3a52, v45
	;; [unrolled: 1-line block ×8, first 2 shown]
	v_mul_f16_sdwa v84, v52, v0 dst_sel:DWORD dst_unused:UNUSED_PAD src0_sel:DWORD src1_sel:WORD_1
	v_mul_f16_sdwa v85, v34, v0 dst_sel:DWORD dst_unused:UNUSED_PAD src0_sel:DWORD src1_sel:WORD_1
	v_fma_f16 v47, v47, s16, v60
	v_fma_f16 v48, v48, s16, v65
	;; [unrolled: 1-line block ×4, first 2 shown]
	v_fma_f16 v45, v58, s18, -v45
	v_fma_f16 v49, v59, s18, -v49
	;; [unrolled: 1-line block ×4, first 2 shown]
	v_fma_f16 v58, v28, s21, v50
	v_fma_f16 v59, v29, s21, v68
	v_fma_f16 v24, v24, s4, -v50
	v_fma_f16 v25, v25, s4, -v68
	;; [unrolled: 1-line block ×4, first 2 shown]
	v_mul_f16_sdwa v88, v54, v2 dst_sel:DWORD dst_unused:UNUSED_PAD src0_sel:DWORD src1_sel:WORD_1
	v_mul_f16_sdwa v89, v30, v2 dst_sel:DWORD dst_unused:UNUSED_PAD src0_sel:DWORD src1_sel:WORD_1
	v_fma_f16 v34, v34, v0, -v84
	v_fma_f16 v52, v52, v0, v85
	v_fma_f16 v53, v53, v1, v87
	v_add_f16_e32 v46, v46, v47
	v_add_f16_e32 v50, v51, v48
	;; [unrolled: 1-line block ×6, first 2 shown]
	v_fma_f16 v48, v33, s19, v59
	v_fma_f16 v24, v32, s19, v24
	;; [unrolled: 1-line block ×5, first 2 shown]
	v_fma_f16 v30, v30, v2, -v88
	v_fma_f16 v54, v54, v2, v89
	v_fma_f16 v47, v32, s19, v58
	v_add_f16_e32 v32, v48, v46
	v_add_f16_e32 v58, v29, v13
	v_sub_f16_e32 v59, v14, v28
	v_sub_f16_e32 v68, v45, v25
	v_add_f16_e32 v69, v24, v49
	v_add_f16_e32 v25, v25, v45
	v_sub_f16_e32 v24, v49, v24
	v_sub_f16_e32 v29, v13, v29
	v_add_f16_e32 v28, v28, v14
	v_sub_f16_e32 v45, v46, v48
	v_add_f16_e32 v13, v34, v56
	v_add_f16_e32 v14, v52, v57
	;; [unrolled: 1-line block ×4, first 2 shown]
	v_sub_f16_e32 v33, v50, v47
	v_add_f16_e32 v46, v47, v50
	v_sub_f16_e32 v34, v34, v56
	v_sub_f16_e32 v47, v52, v57
	v_sub_f16_e32 v50, v63, v55
	v_sub_f16_e32 v26, v53, v26
	v_add_f16_e32 v51, v30, v64
	v_add_f16_e32 v52, v54, v21
	v_sub_f16_e32 v30, v64, v30
	v_sub_f16_e32 v21, v21, v54
	v_add_f16_e32 v53, v48, v13
	v_add_f16_e32 v54, v49, v14
	v_sub_f16_e32 v55, v48, v13
	v_sub_f16_e32 v56, v49, v14
	;; [unrolled: 1-line block ×6, first 2 shown]
	v_add_f16_e32 v57, v30, v50
	v_add_f16_e32 v63, v21, v26
	v_sub_f16_e32 v64, v30, v50
	v_sub_f16_e32 v70, v21, v26
	;; [unrolled: 1-line block ×4, first 2 shown]
	v_add_f16_e32 v51, v51, v53
	v_add_f16_e32 v52, v52, v54
	v_sub_f16_e32 v30, v34, v30
	v_sub_f16_e32 v21, v47, v21
	v_add_f16_e32 v34, v57, v34
	v_add_f16_e32 v47, v63, v47
	;; [unrolled: 1-line block ×3, first 2 shown]
	v_add_f16_sdwa v63, v7, v52 dst_sel:DWORD dst_unused:UNUSED_PAD src0_sel:WORD_1 src1_sel:DWORD
	v_mul_f16_e32 v7, 0x3a52, v13
	v_mul_f16_e32 v13, 0x3a52, v14
	;; [unrolled: 1-line block ×8, first 2 shown]
	v_fma_f16 v51, v51, s16, v57
	v_fma_f16 v52, v52, s16, v63
	;; [unrolled: 1-line block ×4, first 2 shown]
	v_fma_f16 v14, v55, s18, -v14
	v_fma_f16 v53, v56, s18, -v53
	;; [unrolled: 1-line block ×4, first 2 shown]
	v_fma_f16 v55, v30, s21, v54
	v_fma_f16 v56, v21, s21, v64
	v_fma_f16 v26, v26, s4, -v64
	v_fma_f16 v30, v30, s22, -v70
	;; [unrolled: 1-line block ×3, first 2 shown]
	v_add_f16_e32 v14, v14, v51
	v_add_f16_e32 v7, v7, v51
	;; [unrolled: 1-line block ×3, first 2 shown]
	v_fma_f16 v26, v47, s19, v26
	v_fma_f16 v30, v34, s19, v30
	;; [unrolled: 1-line block ×3, first 2 shown]
	v_add_f16_e32 v48, v48, v51
	v_add_f16_e32 v49, v49, v52
	;; [unrolled: 1-line block ×3, first 2 shown]
	v_fma_f16 v51, v34, s19, v55
	v_fma_f16 v52, v47, s19, v56
	v_add_f16_e32 v55, v21, v7
	v_sub_f16_e32 v56, v13, v30
	v_sub_f16_e32 v64, v14, v26
	v_add_f16_e32 v26, v26, v14
	v_sub_f16_e32 v21, v7, v21
	v_add_f16_e32 v30, v30, v13
	v_add_f16_e32 v7, v8, v41
	;; [unrolled: 1-line block ×3, first 2 shown]
	v_sub_f16_e32 v10, v10, v39
	v_add_f16_e32 v14, v9, v19
	v_add_f16_e32 v39, v12, v6
	v_fma_f16 v50, v50, s4, -v54
	v_sub_f16_e32 v9, v9, v19
	v_sub_f16_e32 v6, v12, v6
	v_add_f16_e32 v12, v15, v18
	v_add_f16_e32 v19, v16, v17
	v_sub_f16_e32 v15, v18, v15
	v_sub_f16_e32 v16, v17, v16
	v_add_f16_e32 v17, v14, v7
	v_add_f16_e32 v18, v39, v13
	v_fma_f16 v50, v34, s19, v50
	v_sub_f16_e32 v47, v49, v51
	v_add_f16_e32 v72, v51, v49
	v_sub_f16_e32 v8, v8, v41
	v_sub_f16_e32 v41, v14, v7
	;; [unrolled: 1-line block ×4, first 2 shown]
	v_add_f16_e32 v7, v15, v9
	v_sub_f16_e32 v51, v15, v9
	v_add_f16_e32 v12, v12, v17
	v_add_f16_e32 v17, v19, v18
	;; [unrolled: 1-line block ×3, first 2 shown]
	v_sub_f16_e32 v71, v53, v50
	v_sub_f16_e32 v53, v16, v6
	;; [unrolled: 1-line block ×5, first 2 shown]
	v_add_f16_e32 v18, v7, v8
	v_add_f16_e32 v7, v35, v17
	v_mul_f16_e32 v35, 0xb846, v51
	v_add_f16_e32 v50, v16, v6
	v_sub_f16_e32 v16, v10, v16
	v_mul_f16_e32 v8, 0x3a52, v49
	v_mul_f16_e32 v49, 0xb846, v53
	;; [unrolled: 1-line block ×3, first 2 shown]
	v_fma_f16 v53, v15, s21, v35
	v_fma_f16 v35, v9, s4, -v35
	v_fma_f16 v73, v16, s21, v49
	v_fma_f16 v51, v16, s22, -v51
	v_fma_f16 v16, v18, s19, v35
	v_lshrrev_b32_e32 v35, 2, v91
	v_mul_u32_u24_e32 v35, 28, v35
	v_or_b32_e32 v35, v35, v92
	v_lshlrev_b32_e32 v35, 2, v35
	v_pack_b32_f16 v4, v4, v5
	v_pack_b32_f16 v5, v31, v40
	ds_write2_b32 v35, v4, v5 offset1:4
	v_pack_b32_f16 v4, v61, v62
	v_pack_b32_f16 v5, v66, v67
	ds_write2_b32 v35, v4, v5 offset0:8 offset1:12
	v_pack_b32_f16 v4, v23, v22
	v_pack_b32_f16 v5, v27, v20
	ds_write2_b32 v35, v4, v5 offset0:16 offset1:20
	v_pack_b32_f16 v4, v42, v43
	ds_write_b32 v35, v4 offset:96
	v_lshrrev_b32_e32 v4, 2, v44
	v_mul_u32_u24_e32 v4, 28, v4
	v_or_b32_e32 v4, v4, v92
	v_lshlrev_b32_e32 v20, 2, v4
	v_pack_b32_f16 v4, v60, v65
	v_pack_b32_f16 v5, v32, v33
	ds_write2_b32 v20, v4, v5 offset1:4
	v_pack_b32_f16 v4, v58, v59
	v_pack_b32_f16 v5, v68, v69
	ds_write2_b32 v20, v4, v5 offset0:8 offset1:12
	v_pack_b32_f16 v4, v25, v24
	v_pack_b32_f16 v5, v29, v28
	ds_write2_b32 v20, v4, v5 offset0:16 offset1:20
	v_pack_b32_f16 v4, v45, v46
	ds_write_b32 v20, v4 offset:96
	v_lshrrev_b32_e32 v4, 2, v38
	v_mul_u32_u24_e32 v4, 28, v4
	v_add_f16_e32 v34, v52, v48
	v_or_b32_e32 v4, v4, v92
	v_sub_f16_e32 v52, v48, v52
	v_sub_f16_e32 v48, v39, v13
	;; [unrolled: 1-line block ×4, first 2 shown]
	buffer_store_dword v20, off, s[24:27], 0 offset:196 ; 4-byte Folded Spill
	v_lshlrev_b32_e32 v20, 2, v4
	v_pack_b32_f16 v4, v57, v63
	v_pack_b32_f16 v5, v34, v47
	v_add_f16_e32 v19, v50, v10
	v_add_f16_e32 v6, v11, v12
	v_mul_f16_e32 v10, 0x3a52, v13
	v_mul_f16_e32 v11, 0x2b26, v14
	;; [unrolled: 1-line block ×4, first 2 shown]
	ds_write2_b32 v20, v4, v5 offset1:4
	v_pack_b32_f16 v4, v55, v56
	v_pack_b32_f16 v5, v64, v70
	v_fma_f16 v12, v12, s16, v6
	v_fma_f16 v17, v17, s16, v7
	;; [unrolled: 1-line block ×4, first 2 shown]
	v_fma_f16 v11, v41, s18, -v11
	v_fma_f16 v13, v48, s18, -v13
	;; [unrolled: 1-line block ×6, first 2 shown]
	ds_write2_b32 v20, v4, v5 offset0:8 offset1:12
	v_pack_b32_f16 v4, v26, v71
	v_pack_b32_f16 v5, v21, v30
	v_add_f16_e32 v8, v14, v12
	v_add_f16_e32 v9, v39, v17
	;; [unrolled: 1-line block ×6, first 2 shown]
	v_fma_f16 v12, v18, s19, v53
	v_fma_f16 v13, v19, s19, v73
	;; [unrolled: 1-line block ×5, first 2 shown]
	ds_write2_b32 v20, v4, v5 offset0:16 offset1:20
	v_pack_b32_f16 v4, v52, v72
	v_add_f16_e32 v50, v17, v10
	v_sub_f16_e32 v54, v14, v16
	v_sub_f16_e32 v49, v11, v19
	v_add_f16_e32 v53, v18, v15
	v_sub_f16_e32 v48, v8, v13
	v_add_f16_e32 v51, v12, v9
	ds_write_b32 v20, v4 offset:96
	v_lshrrev_b32_e32 v4, 2, v37
	buffer_store_dword v35, off, s[24:27], 0 offset:192 ; 4-byte Folded Spill
	buffer_store_dword v20, off, s[24:27], 0 offset:200 ; 4-byte Folded Spill
	;; [unrolled: 1-line block ×3, first 2 shown]
	s_and_saveexec_b64 s[4:5], s[2:3]
	s_cbranch_execz .LBB0_11
; %bb.10:
	v_add_f16_e32 v8, v13, v8
	buffer_load_dword v13, off, s[24:27], 0 offset:172 ; 4-byte Folded Reload
	v_sub_f16_e32 v9, v9, v12
	v_lshrrev_b32_e32 v12, 2, v37
	v_mul_u32_u24_e32 v12, 28, v12
	s_mov_b32 s16, 0x5040100
	v_add_f16_e32 v4, v16, v14
	v_sub_f16_e32 v5, v10, v17
	v_sub_f16_e32 v10, v15, v18
	v_add_f16_e32 v11, v19, v11
	v_perm_b32 v6, v7, v6, s16
	v_pack_b32_f16 v7, v8, v9
	v_pack_b32_f16 v4, v5, v4
	v_perm_b32 v5, v53, v49, s16
	s_waitcnt vmcnt(0)
	v_or_b32_e32 v12, v12, v13
	v_lshlrev_b32_e32 v12, 2, v12
	ds_write2_b32 v12, v6, v7 offset1:4
	v_pack_b32_f16 v6, v11, v10
	ds_write2_b32 v12, v6, v4 offset0:8 offset1:12
	v_perm_b32 v4, v54, v50, s16
	ds_write2_b32 v12, v4, v5 offset0:16 offset1:20
	v_perm_b32 v4, v51, v48, s16
	ds_write_b32 v12, v4 offset:96
.LBB0_11:
	s_or_b64 exec, exec, s[4:5]
	v_lshlrev_b32_e32 v4, 2, v44
	buffer_store_dword v4, off, s[24:27], 0 offset:252 ; 4-byte Folded Spill
	v_lshlrev_b32_e32 v4, 2, v38
	buffer_store_dword v4, off, s[24:27], 0 offset:248 ; 4-byte Folded Spill
	;; [unrolled: 2-line block ×3, first 2 shown]
	s_waitcnt vmcnt(0) lgkmcnt(0)
	s_barrier
	buffer_load_dword v112, off, s[24:27], 0 offset:4 ; 4-byte Folded Reload
	v_mov_b32_e32 v95, s15
	ds_read2st64_b32 v[24:25], v107 offset0:28 offset1:35
	ds_read2st64_b32 v[13:14], v107 offset0:70 offset1:77
	;; [unrolled: 1-line block ×5, first 2 shown]
	s_waitcnt lgkmcnt(4)
	v_lshrrev_b32_e32 v8, 16, v25
	s_waitcnt lgkmcnt(3)
	v_lshrrev_b32_e32 v9, 16, v13
	;; [unrolled: 2-line block ×4, first 2 shown]
	ds_read2st64_b32 v[15:16], v107 offset0:112 offset1:119
	s_waitcnt lgkmcnt(1)
	v_lshrrev_b32_e32 v68, 16, v17
	v_lshrrev_b32_e32 v69, 16, v14
	;; [unrolled: 1-line block ×3, first 2 shown]
	ds_read2st64_b32 v[21:22], v107 offset0:84 offset1:91
	s_waitcnt lgkmcnt(1)
	v_lshrrev_b32_e32 v70, 16, v15
	v_lshrrev_b32_e32 v76, 16, v18
	ds_read2st64_b32 v[19:20], v107 offset0:154 offset1:161
	v_lshrrev_b32_e32 v81, 16, v16
	s_waitcnt lgkmcnt(1)
	v_lshrrev_b32_e32 v77, 16, v21
	ds_read2st64_b32 v[34:35], v107 offset0:56 offset1:63
	ds_read2st64_b32 v[32:33], v107 offset0:126 offset1:133
	s_waitcnt lgkmcnt(2)
	v_lshrrev_b32_e32 v60, 16, v19
	v_lshrrev_b32_e32 v88, 16, v22
	;; [unrolled: 1-line block ×3, first 2 shown]
	s_waitcnt lgkmcnt(1)
	v_lshrrev_b32_e32 v87, 16, v34
	s_waitcnt lgkmcnt(0)
	v_lshrrev_b32_e32 v78, 16, v32
	v_lshrrev_b32_e32 v59, 16, v35
	ds_read_b32 v55, v107 offset:43008
	v_lshrrev_b32_e32 v58, 16, v30
	ds_read2st64_b32 v[28:29], v107 offset1:7
	v_lshrrev_b32_e32 v57, 16, v33
	s_movk_i32 s5, 0x3b9c
	s_waitcnt lgkmcnt(1)
	v_lshrrev_b32_e32 v56, 16, v55
	s_mov_b32 s18, 0xbb9c
	s_mov_b32 s19, 0xb8b4
	s_movk_i32 s16, 0x34f2
	s_movk_i32 s4, 0x38b4
	s_waitcnt lgkmcnt(0)
	v_lshrrev_b32_e32 v46, 16, v28
	v_lshrrev_b32_e32 v45, 16, v29
	ds_read2st64_b32 v[26:27], v107 offset0:14 offset1:21
	v_lshrrev_b32_e32 v39, 16, v24
                                        ; implicit-def: $vgpr118
                                        ; implicit-def: $vgpr126
	s_waitcnt lgkmcnt(0)
	v_lshrrev_b32_e32 v41, 16, v26
	v_lshrrev_b32_e32 v40, 16, v27
	s_waitcnt vmcnt(0)
	v_lshrrev_b16_e32 v4, 2, v112
	v_mul_u32_u24_e32 v4, 0x4925, v4
	v_lshrrev_b32_e32 v42, 17, v4
	v_mul_lo_u16_e32 v4, 28, v42
	v_sub_u16_e32 v43, v112, v4
	v_lshlrev_b16_e32 v4, 4, v43
	v_add_co_u32_e32 v4, vcc, s14, v4
	v_addc_co_u32_e32 v5, vcc, 0, v95, vcc
	global_load_dwordx4 v[4:7], v[4:5], off offset:96
	s_waitcnt vmcnt(0)
	v_mul_f16_sdwa v52, v8, v4 dst_sel:DWORD dst_unused:UNUSED_PAD src0_sel:DWORD src1_sel:WORD_1
	v_fma_f16 v64, v25, v4, -v52
	v_mul_f16_sdwa v25, v25, v4 dst_sel:DWORD dst_unused:UNUSED_PAD src0_sel:DWORD src1_sel:WORD_1
	v_fma_f16 v61, v8, v4, v25
	v_mul_f16_sdwa v8, v9, v5 dst_sel:DWORD dst_unused:UNUSED_PAD src0_sel:DWORD src1_sel:WORD_1
	v_fma_f16 v65, v13, v5, -v8
	v_mul_f16_sdwa v8, v13, v5 dst_sel:DWORD dst_unused:UNUSED_PAD src0_sel:DWORD src1_sel:WORD_1
	v_fma_f16 v62, v9, v5, v8
	v_mul_f16_sdwa v8, v10, v6 dst_sel:DWORD dst_unused:UNUSED_PAD src0_sel:DWORD src1_sel:WORD_1
	v_fma_f16 v66, v31, v6, -v8
	v_mul_f16_sdwa v8, v31, v6 dst_sel:DWORD dst_unused:UNUSED_PAD src0_sel:DWORD src1_sel:WORD_1
	v_fma_f16 v52, v10, v6, v8
	v_mul_f16_sdwa v8, v63, v7 dst_sel:DWORD dst_unused:UNUSED_PAD src0_sel:DWORD src1_sel:WORD_1
	v_fma_f16 v67, v11, v7, -v8
	v_mul_f16_sdwa v8, v11, v7 dst_sel:DWORD dst_unused:UNUSED_PAD src0_sel:DWORD src1_sel:WORD_1
	v_fma_f16 v63, v63, v7, v8
	v_lshrrev_b16_e32 v8, 2, v44
	v_mul_u32_u24_e32 v8, 0x4925, v8
	v_lshrrev_b32_e32 v25, 17, v8
	v_mul_lo_u16_e32 v8, 28, v25
	v_sub_u16_e32 v31, v44, v8
	v_lshlrev_b16_e32 v8, 4, v31
	v_add_co_u32_e32 v8, vcc, s14, v8
	v_addc_co_u32_e32 v9, vcc, 0, v95, vcc
	global_load_dwordx4 v[8:11], v[8:9], off offset:96
	s_waitcnt vmcnt(0)
	v_mul_f16_sdwa v13, v68, v8 dst_sel:DWORD dst_unused:UNUSED_PAD src0_sel:DWORD src1_sel:WORD_1
	v_fma_f16 v72, v17, v8, -v13
	v_mul_f16_sdwa v13, v17, v8 dst_sel:DWORD dst_unused:UNUSED_PAD src0_sel:DWORD src1_sel:WORD_1
	v_fma_f16 v68, v68, v8, v13
	v_mul_f16_sdwa v13, v69, v9 dst_sel:DWORD dst_unused:UNUSED_PAD src0_sel:DWORD src1_sel:WORD_1
	v_fma_f16 v73, v14, v9, -v13
	v_mul_f16_sdwa v13, v14, v9 dst_sel:DWORD dst_unused:UNUSED_PAD src0_sel:DWORD src1_sel:WORD_1
	v_fma_f16 v69, v69, v9, v13
	v_mul_f16_sdwa v13, v70, v10 dst_sel:DWORD dst_unused:UNUSED_PAD src0_sel:DWORD src1_sel:WORD_1
	v_fma_f16 v74, v15, v10, -v13
	v_mul_f16_sdwa v13, v15, v10 dst_sel:DWORD dst_unused:UNUSED_PAD src0_sel:DWORD src1_sel:WORD_1
	v_fma_f16 v70, v70, v10, v13
	v_mul_f16_sdwa v13, v47, v11 dst_sel:DWORD dst_unused:UNUSED_PAD src0_sel:DWORD src1_sel:WORD_1
	v_fma_f16 v75, v12, v11, -v13
	v_mul_f16_sdwa v12, v12, v11 dst_sel:DWORD dst_unused:UNUSED_PAD src0_sel:DWORD src1_sel:WORD_1
	v_fma_f16 v71, v47, v11, v12
	;; [unrolled: 26-line block ×4, first 2 shown]
	v_lshrrev_b16_e32 v20, 2, v36
	v_mul_u32_u24_e32 v20, 0x4925, v20
	v_lshrrev_b32_e32 v78, 17, v20
	v_mul_lo_u16_e32 v20, 28, v78
	v_sub_u16_e32 v36, v36, v20
	v_lshlrev_b16_e32 v20, 4, v36
	v_add_co_u32_e32 v20, vcc, s14, v20
	v_addc_co_u32_e32 v21, vcc, 0, v95, vcc
	global_load_dwordx4 v[20:23], v[20:21], off offset:96
	s_waitcnt vmcnt(0)
	s_barrier
	v_mul_f16_sdwa v32, v59, v20 dst_sel:DWORD dst_unused:UNUSED_PAD src0_sel:DWORD src1_sel:WORD_1
	v_fma_f16 v98, v35, v20, -v32
	v_mul_f16_sdwa v32, v35, v20 dst_sel:DWORD dst_unused:UNUSED_PAD src0_sel:DWORD src1_sel:WORD_1
	v_fma_f16 v59, v59, v20, v32
	v_mul_f16_sdwa v32, v58, v21 dst_sel:DWORD dst_unused:UNUSED_PAD src0_sel:DWORD src1_sel:WORD_1
	v_fma_f16 v99, v30, v21, -v32
	v_mul_f16_sdwa v30, v30, v21 dst_sel:DWORD dst_unused:UNUSED_PAD src0_sel:DWORD src1_sel:WORD_1
	v_fma_f16 v58, v58, v21, v30
	;; [unrolled: 4-line block ×3, first 2 shown]
	v_mul_f16_sdwa v30, v56, v23 dst_sel:DWORD dst_unused:UNUSED_PAD src0_sel:DWORD src1_sel:WORD_1
	v_add_f16_e32 v32, v65, v66
	v_fma_f16 v104, v55, v23, -v30
	v_mul_f16_sdwa v30, v55, v23 dst_sel:DWORD dst_unused:UNUSED_PAD src0_sel:DWORD src1_sel:WORD_1
	v_fma_f16 v32, v32, -0.5, v28
	v_sub_f16_e32 v33, v61, v63
	v_fma_f16 v97, v56, v23, v30
	v_fma_f16 v34, v33, s5, v32
	v_sub_f16_e32 v35, v62, v52
	v_sub_f16_e32 v55, v64, v65
	;; [unrolled: 1-line block ×3, first 2 shown]
	v_fma_f16 v32, v33, s18, v32
	v_add_f16_e32 v55, v55, v56
	v_fma_f16 v32, v35, s19, v32
	v_fma_f16 v102, v55, s16, v32
	v_add_f16_e32 v32, v64, v67
	v_fma_f16 v34, v35, s4, v34
	v_fma_f16 v32, v32, -0.5, v28
	v_add_f16_e32 v30, v28, v64
	v_fma_f16 v100, v55, s16, v34
	v_fma_f16 v28, v35, s18, v32
	v_sub_f16_e32 v34, v65, v64
	v_sub_f16_e32 v55, v66, v67
	v_fma_f16 v32, v35, s5, v32
	v_add_f16_e32 v34, v34, v55
	v_fma_f16 v32, v33, s19, v32
	v_fma_f16 v105, v34, s16, v32
	v_add_f16_e32 v32, v46, v61
	v_add_f16_e32 v32, v32, v62
	;; [unrolled: 1-line block ×5, first 2 shown]
	v_fma_f16 v28, v33, s4, v28
	v_fma_f16 v32, v32, -0.5, v46
	v_sub_f16_e32 v33, v64, v67
	v_fma_f16 v28, v34, s16, v28
	v_fma_f16 v34, v33, s18, v32
	v_sub_f16_e32 v35, v65, v66
	v_sub_f16_e32 v55, v61, v62
	;; [unrolled: 1-line block ×3, first 2 shown]
	v_fma_f16 v32, v33, s5, v32
	v_add_f16_e32 v55, v55, v56
	v_fma_f16 v32, v35, s4, v32
	v_add_f16_e32 v30, v30, v65
	;; [unrolled: 2-line block ×3, first 2 shown]
	v_fma_f16 v34, v35, s19, v34
	v_fma_f16 v32, v32, -0.5, v46
	v_fma_f16 v64, v55, s16, v34
	v_fma_f16 v34, v35, s5, v32
	v_sub_f16_e32 v46, v62, v61
	v_sub_f16_e32 v52, v52, v63
	v_fma_f16 v32, v35, s18, v32
	v_add_f16_e32 v46, v46, v52
	v_fma_f16 v32, v33, s4, v32
	v_fma_f16 v61, v46, s16, v32
	v_add_f16_e32 v32, v29, v72
	v_add_f16_e32 v32, v32, v73
	;; [unrolled: 1-line block ×5, first 2 shown]
	v_fma_f16 v34, v33, s19, v34
	v_fma_f16 v32, v32, -0.5, v29
	v_sub_f16_e32 v33, v68, v71
	v_fma_f16 v52, v46, s16, v34
	v_fma_f16 v34, v33, s5, v32
	v_sub_f16_e32 v35, v69, v70
	v_sub_f16_e32 v46, v72, v73
	;; [unrolled: 1-line block ×3, first 2 shown]
	v_fma_f16 v32, v33, s18, v32
	v_add_f16_e32 v46, v46, v55
	v_fma_f16 v32, v35, s19, v32
	v_add_f16_e32 v30, v30, v66
	;; [unrolled: 2-line block ×3, first 2 shown]
	v_fma_f16 v34, v35, s4, v34
	v_fma_f16 v29, v32, -0.5, v29
	v_fma_f16 v63, v46, s16, v34
	v_fma_f16 v32, v35, s18, v29
	v_sub_f16_e32 v34, v73, v72
	v_sub_f16_e32 v46, v74, v75
	v_fma_f16 v32, v33, s4, v32
	v_add_f16_e32 v34, v34, v46
	v_add_f16_e32 v30, v30, v67
	v_fma_f16 v67, v34, s16, v32
	v_add_f16_e32 v32, v45, v68
	v_add_f16_e32 v32, v32, v69
	;; [unrolled: 1-line block ×3, first 2 shown]
	v_fma_f16 v29, v35, s5, v29
	v_add_f16_e32 v109, v32, v71
	v_add_f16_e32 v32, v69, v70
	v_fma_f16 v29, v33, s19, v29
	v_fma_f16 v32, v32, -0.5, v45
	v_sub_f16_e32 v33, v72, v75
	v_fma_f16 v29, v34, s16, v29
	v_fma_f16 v34, v33, s18, v32
	v_sub_f16_e32 v35, v73, v74
	v_sub_f16_e32 v46, v68, v69
	;; [unrolled: 1-line block ×3, first 2 shown]
	v_fma_f16 v32, v33, s5, v32
	v_add_f16_e32 v46, v46, v55
	v_fma_f16 v32, v35, s4, v32
	v_fma_f16 v73, v46, s16, v32
	v_add_f16_e32 v32, v68, v71
	v_fma_f16 v34, v35, s19, v34
	v_fma_f16 v32, v32, -0.5, v45
	v_fma_f16 v72, v46, s16, v34
	v_fma_f16 v34, v35, s5, v32
	v_sub_f16_e32 v45, v69, v68
	v_sub_f16_e32 v46, v70, v71
	v_fma_f16 v32, v35, s18, v32
	v_add_f16_e32 v45, v45, v46
	v_fma_f16 v32, v33, s4, v32
	v_fma_f16 v69, v45, s16, v32
	v_add_f16_e32 v32, v26, v83
	v_add_f16_e32 v32, v32, v84
	;; [unrolled: 1-line block ×5, first 2 shown]
	v_fma_f16 v34, v33, s19, v34
	v_fma_f16 v32, v32, -0.5, v26
	v_sub_f16_e32 v33, v76, v82
	v_fma_f16 v68, v45, s16, v34
	v_fma_f16 v34, v33, s5, v32
	v_sub_f16_e32 v35, v77, v81
	v_sub_f16_e32 v45, v83, v84
	;; [unrolled: 1-line block ×3, first 2 shown]
	v_fma_f16 v32, v33, s18, v32
	v_add_f16_e32 v45, v45, v46
	v_fma_f16 v32, v35, s19, v32
	v_fma_f16 v74, v45, s16, v32
	v_add_f16_e32 v32, v83, v86
	v_fma_f16 v34, v35, s4, v34
	v_fma_f16 v26, v32, -0.5, v26
	v_fma_f16 v71, v45, s16, v34
	v_fma_f16 v32, v35, s18, v26
	v_sub_f16_e32 v34, v84, v83
	v_sub_f16_e32 v45, v85, v86
	v_fma_f16 v32, v33, s4, v32
	v_add_f16_e32 v34, v34, v45
	v_fma_f16 v110, v34, s16, v32
	v_add_f16_e32 v32, v41, v76
	v_add_f16_e32 v32, v32, v77
	;; [unrolled: 1-line block ×3, first 2 shown]
	v_fma_f16 v26, v35, s5, v26
	v_add_f16_e32 v111, v32, v82
	v_add_f16_e32 v32, v77, v81
	v_fma_f16 v26, v33, s19, v26
	v_fma_f16 v32, v32, -0.5, v41
	v_sub_f16_e32 v33, v83, v86
	v_fma_f16 v26, v34, s16, v26
	v_fma_f16 v34, v33, s18, v32
	v_sub_f16_e32 v35, v84, v85
	v_sub_f16_e32 v45, v76, v77
	;; [unrolled: 1-line block ×3, first 2 shown]
	v_fma_f16 v32, v33, s5, v32
	v_add_f16_e32 v45, v45, v46
	v_fma_f16 v32, v35, s4, v32
	v_fma_f16 v84, v45, s16, v32
	v_add_f16_e32 v32, v76, v82
	v_fma_f16 v34, v35, s19, v34
	v_fma_f16 v32, v32, -0.5, v41
	v_fma_f16 v83, v45, s16, v34
	v_fma_f16 v34, v35, s5, v32
	v_sub_f16_e32 v41, v77, v76
	v_sub_f16_e32 v45, v81, v82
	v_fma_f16 v32, v35, s18, v32
	v_fma_f16 v34, v33, s19, v34
	v_add_f16_e32 v41, v41, v45
	v_fma_f16 v32, v33, s4, v32
	v_fma_f16 v81, v41, s16, v34
	v_fma_f16 v41, v41, s16, v32
	v_add_f16_e32 v32, v27, v91
	v_add_f16_e32 v32, v32, v92
	;; [unrolled: 1-line block ×5, first 2 shown]
	v_fma_f16 v32, v32, -0.5, v27
	v_sub_f16_e32 v34, v87, v90
	v_fma_f16 v33, v34, s5, v32
	v_sub_f16_e32 v35, v88, v89
	v_sub_f16_e32 v45, v91, v92
	;; [unrolled: 1-line block ×3, first 2 shown]
	v_fma_f16 v33, v35, s4, v33
	v_add_f16_e32 v45, v45, v46
	v_fma_f16 v55, v45, s16, v33
	v_fma_f16 v32, v34, s18, v32
	v_add_f16_e32 v33, v91, v94
	v_fma_f16 v32, v35, s19, v32
	v_fma_f16 v27, v33, -0.5, v27
	v_fma_f16 v32, v45, s16, v32
	v_fma_f16 v33, v35, s18, v27
	v_sub_f16_e32 v45, v92, v91
	v_sub_f16_e32 v46, v93, v94
	v_fma_f16 v27, v35, s5, v27
	v_fma_f16 v33, v34, s4, v33
	v_add_f16_e32 v45, v45, v46
	v_fma_f16 v27, v34, s19, v27
	v_add_f16_e32 v35, v88, v89
	v_fma_f16 v33, v45, s16, v33
	v_fma_f16 v34, v45, s16, v27
	v_fma_f16 v35, v35, -0.5, v40
	v_sub_f16_e32 v45, v91, v94
	v_fma_f16 v46, v45, s18, v35
	v_sub_f16_e32 v75, v92, v93
	v_sub_f16_e32 v56, v87, v88
	;; [unrolled: 1-line block ×3, first 2 shown]
	v_fma_f16 v46, v75, s19, v46
	v_add_f16_e32 v76, v56, v76
	v_fma_f16 v56, v76, s16, v46
	v_fma_f16 v35, v45, s5, v35
	v_add_f16_e32 v46, v87, v90
	v_add_f16_e32 v27, v40, v87
	v_fma_f16 v35, v75, s4, v35
	v_fma_f16 v40, v46, -0.5, v40
	v_fma_f16 v35, v76, s16, v35
	v_fma_f16 v46, v75, s5, v40
	v_sub_f16_e32 v76, v88, v87
	v_sub_f16_e32 v77, v89, v90
	v_fma_f16 v40, v75, s18, v40
	v_add_f16_e32 v76, v76, v77
	v_fma_f16 v40, v45, s4, v40
	v_fma_f16 v95, v76, s16, v40
	v_add_f16_e32 v40, v24, v98
	v_add_f16_e32 v40, v40, v99
	;; [unrolled: 1-line block ×5, first 2 shown]
	v_fma_f16 v46, v45, s19, v46
	v_fma_f16 v40, v40, -0.5, v24
	v_sub_f16_e32 v75, v59, v97
	v_fma_f16 v96, v76, s16, v46
	v_fma_f16 v45, v75, s5, v40
	v_sub_f16_e32 v77, v58, v57
	v_sub_f16_e32 v46, v98, v99
	;; [unrolled: 1-line block ×3, first 2 shown]
	v_fma_f16 v40, v75, s18, v40
	v_fma_f16 v45, v77, s4, v45
	v_add_f16_e32 v76, v46, v76
	v_fma_f16 v40, v77, s19, v40
	v_fma_f16 v46, v76, s16, v45
	;; [unrolled: 1-line block ×3, first 2 shown]
	v_add_f16_e32 v40, v98, v104
	v_fma_f16 v24, v40, -0.5, v24
	v_fma_f16 v40, v77, s18, v24
	v_sub_f16_e32 v76, v99, v98
	v_sub_f16_e32 v85, v103, v104
	v_fma_f16 v24, v77, s5, v24
	v_add_f16_e32 v85, v76, v85
	v_fma_f16 v24, v75, s19, v24
	v_fma_f16 v40, v75, s4, v40
	;; [unrolled: 1-line block ×3, first 2 shown]
	v_add_f16_e32 v24, v39, v59
	v_add_f16_e32 v24, v24, v58
	;; [unrolled: 1-line block ×5, first 2 shown]
	v_fma_f16 v76, v85, s16, v40
	v_fma_f16 v24, v24, -0.5, v39
	v_sub_f16_e32 v40, v98, v104
	v_fma_f16 v77, v40, s18, v24
	v_sub_f16_e32 v85, v99, v103
	v_sub_f16_e32 v86, v59, v58
	;; [unrolled: 1-line block ×3, first 2 shown]
	v_fma_f16 v24, v40, s5, v24
	v_fma_f16 v77, v85, s19, v77
	v_add_f16_e32 v86, v86, v87
	v_fma_f16 v24, v85, s4, v24
	v_fma_f16 v117, v86, s16, v77
	;; [unrolled: 1-line block ×3, first 2 shown]
	v_add_f16_e32 v24, v59, v97
	v_fma_f16 v24, v24, -0.5, v39
	v_fma_f16 v39, v85, s5, v24
	v_sub_f16_e32 v58, v58, v59
	v_sub_f16_e32 v57, v57, v97
	v_fma_f16 v24, v85, s18, v24
	v_add_f16_e32 v57, v58, v57
	v_fma_f16 v24, v40, s4, v24
	s_movk_i32 s4, 0x8c
	v_fma_f16 v39, v40, s19, v39
	v_fma_f16 v119, v57, s16, v24
	v_mad_legacy_u16 v24, v42, s4, v43
	v_fma_f16 v120, v57, s16, v39
	v_lshlrev_b32_e32 v39, 2, v24
	v_pack_b32_f16 v24, v30, v108
	v_pack_b32_f16 v30, v100, v64
	ds_write2_b32 v39, v24, v30 offset1:28
	v_pack_b32_f16 v24, v28, v52
	v_pack_b32_f16 v28, v105, v61
	ds_write2_b32 v39, v24, v28 offset0:56 offset1:84
	v_pack_b32_f16 v24, v102, v65
	ds_write_b32 v39, v24 offset:448
	v_mad_legacy_u16 v24, v25, s4, v31
	v_lshlrev_b32_e32 v28, 2, v24
	v_pack_b32_f16 v24, v62, v109
	v_pack_b32_f16 v25, v63, v72
	ds_write2_b32 v28, v24, v25 offset1:28
	v_pack_b32_f16 v24, v67, v68
	v_pack_b32_f16 v25, v29, v69
	ds_write2_b32 v28, v24, v25 offset0:56 offset1:84
	v_pack_b32_f16 v24, v66, v73
	ds_write_b32 v28, v24 offset:448
	v_mad_legacy_u16 v24, v47, s4, v38
	buffer_store_dword v28, off, s[24:27], 0 offset:216 ; 4-byte Folded Spill
	v_lshlrev_b32_e32 v28, 2, v24
	v_pack_b32_f16 v24, v70, v111
	v_pack_b32_f16 v25, v71, v83
	v_add_f16_e32 v27, v27, v88
	ds_write2_b32 v28, v24, v25 offset1:28
	v_pack_b32_f16 v24, v110, v81
	v_pack_b32_f16 v25, v26, v41
	v_add_f16_e32 v27, v27, v89
	ds_write2_b32 v28, v24, v25 offset0:56 offset1:84
	v_pack_b32_f16 v24, v74, v84
	v_add_f16_e32 v27, v27, v90
	ds_write_b32 v28, v24 offset:448
	v_mad_legacy_u16 v24, v60, s4, v37
	v_lshlrev_b32_e32 v26, 2, v24
	v_pack_b32_f16 v24, v82, v27
	v_pack_b32_f16 v25, v55, v56
	ds_write2_b32 v26, v24, v25 offset1:28
	v_pack_b32_f16 v24, v33, v96
	v_pack_b32_f16 v25, v34, v95
	ds_write2_b32 v26, v24, v25 offset0:56 offset1:84
	v_pack_b32_f16 v24, v32, v35
	ds_write_b32 v26, v24 offset:448
	v_mad_legacy_u16 v24, v78, s4, v36
	buffer_store_dword v26, off, s[24:27], 0 offset:224 ; 4-byte Folded Spill
	v_lshlrev_b32_e32 v26, 2, v24
	v_pack_b32_f16 v24, v101, v106
	v_pack_b32_f16 v25, v46, v117
	ds_write2_b32 v26, v24, v25 offset1:28
	v_pack_b32_f16 v24, v76, v120
	v_pack_b32_f16 v25, v75, v119
	ds_write2_b32 v26, v24, v25 offset0:56 offset1:84
	v_pack_b32_f16 v24, v45, v77
	buffer_store_dword v39, off, s[24:27], 0 offset:212 ; 4-byte Folded Spill
	buffer_store_dword v28, off, s[24:27], 0 offset:220 ; 4-byte Folded Spill
	;; [unrolled: 1-line block ×3, first 2 shown]
	ds_write_b32 v26, v24 offset:448
	s_waitcnt vmcnt(0) lgkmcnt(0)
	s_barrier
	ds_read_b32 v57, v107
	ds_read_b32 v39, v107 offset:2800
	ds_read_b32 v38, v107 offset:5600
	;; [unrolled: 1-line block ×15, first 2 shown]
	s_movk_i32 s4, 0xfc
	v_cmp_gt_u16_e64 s[4:5], s4, v112
                                        ; implicit-def: $vgpr60
                                        ; implicit-def: $vgpr63
                                        ; implicit-def: $vgpr61
                                        ; implicit-def: $vgpr64
                                        ; implicit-def: $vgpr62
                                        ; implicit-def: $vgpr65
	s_and_saveexec_b64 s[18:19], s[4:5]
	s_cbranch_execz .LBB0_13
; %bb.12:
	ds_read_b32 v55, v107 offset:1792
	ds_read_b32 v33, v107 offset:4592
	;; [unrolled: 1-line block ×16, first 2 shown]
	s_waitcnt lgkmcnt(14)
	v_lshrrev_b32_e32 v56, 16, v55
	v_lshrrev_b32_e32 v96, 16, v33
	s_waitcnt lgkmcnt(13)
	v_lshrrev_b32_e32 v95, 16, v34
	s_waitcnt lgkmcnt(12)
	;; [unrolled: 2-line block ×10, first 2 shown]
	v_lshrrev_b32_e32 v51, 16, v48
	v_lshrrev_b32_e32 v126, 16, v118
	;; [unrolled: 1-line block ×5, first 2 shown]
.LBB0_13:
	s_or_b64 exec, exec, s[18:19]
	v_mul_u32_u24_e32 v28, 0xea0f, v112
	v_lshrrev_b32_e32 v58, 23, v28
	v_mul_lo_u16_e32 v28, 0x8c, v58
	v_sub_u16_e32 v59, v112, v28
	v_mul_lo_u16_e32 v28, 60, v59
	v_add_co_u32_e32 v72, vcc, s14, v28
	v_mov_b32_e32 v97, s15
	v_addc_co_u32_e32 v73, vcc, 0, v97, vcc
	global_load_dwordx4 v[28:31], v[72:73], off offset:544
	s_waitcnt lgkmcnt(14)
	v_lshrrev_b32_e32 v69, 16, v39
	s_waitcnt lgkmcnt(13)
	v_lshrrev_b32_e32 v71, 16, v38
	;; [unrolled: 2-line block ×15, first 2 shown]
	s_mov_b32 s16, 0xea0f
	v_lshrrev_b32_e32 v66, 16, v57
	s_movk_i32 s18, 0x39a8
	s_mov_b32 s19, 0xbb64
	s_mov_b32 s20, 0xb61f
	s_movk_i32 s21, 0x361f
	s_movk_i32 s22, 0x3b64
	s_waitcnt vmcnt(0)
	v_mul_f16_sdwa v68, v69, v28 dst_sel:DWORD dst_unused:UNUSED_PAD src0_sel:DWORD src1_sel:WORD_1
	v_fma_f16 v68, v39, v28, -v68
	v_mul_f16_sdwa v39, v39, v28 dst_sel:DWORD dst_unused:UNUSED_PAD src0_sel:DWORD src1_sel:WORD_1
	v_fma_f16 v70, v69, v28, v39
	v_mul_f16_sdwa v39, v71, v29 dst_sel:DWORD dst_unused:UNUSED_PAD src0_sel:DWORD src1_sel:WORD_1
	v_fma_f16 v81, v38, v29, -v39
	v_mul_f16_sdwa v38, v38, v29 dst_sel:DWORD dst_unused:UNUSED_PAD src0_sel:DWORD src1_sel:WORD_1
	v_fma_f16 v82, v71, v29, v38
	;; [unrolled: 4-line block ×4, first 2 shown]
	global_load_dwordx4 v[36:39], v[72:73], off offset:560
	s_waitcnt vmcnt(0)
	v_mul_f16_sdwa v74, v86, v36 dst_sel:DWORD dst_unused:UNUSED_PAD src0_sel:DWORD src1_sel:WORD_1
	v_fma_f16 v85, v43, v36, -v74
	v_mul_f16_sdwa v43, v43, v36 dst_sel:DWORD dst_unused:UNUSED_PAD src0_sel:DWORD src1_sel:WORD_1
	v_fma_f16 v87, v86, v36, v43
	v_mul_f16_sdwa v43, v88, v37 dst_sel:DWORD dst_unused:UNUSED_PAD src0_sel:DWORD src1_sel:WORD_1
	v_fma_f16 v90, v42, v37, -v43
	v_mul_f16_sdwa v42, v42, v37 dst_sel:DWORD dst_unused:UNUSED_PAD src0_sel:DWORD src1_sel:WORD_1
	v_fma_f16 v91, v88, v37, v42
	;; [unrolled: 4-line block ×4, first 2 shown]
	global_load_dwordx4 v[40:43], v[72:73], off offset:576
	s_waitcnt vmcnt(0)
	v_mul_f16_sdwa v74, v98, v40 dst_sel:DWORD dst_unused:UNUSED_PAD src0_sel:DWORD src1_sel:WORD_1
	v_fma_f16 v102, v67, v40, -v74
	global_load_dwordx3 v[72:74], v[72:73], off offset:592
	v_mul_f16_sdwa v67, v67, v40 dst_sel:DWORD dst_unused:UNUSED_PAD src0_sel:DWORD src1_sel:WORD_1
	v_fma_f16 v104, v98, v40, v67
	v_mul_f16_sdwa v67, v99, v41 dst_sel:DWORD dst_unused:UNUSED_PAD src0_sel:DWORD src1_sel:WORD_1
	v_fma_f16 v113, v52, v41, -v67
	v_mul_f16_sdwa v52, v52, v41 dst_sel:DWORD dst_unused:UNUSED_PAD src0_sel:DWORD src1_sel:WORD_1
	v_fma_f16 v114, v99, v41, v52
	v_mul_f16_sdwa v52, v100, v42 dst_sel:DWORD dst_unused:UNUSED_PAD src0_sel:DWORD src1_sel:WORD_1
	v_fma_f16 v103, v47, v42, -v52
	;; [unrolled: 4-line block ×3, first 2 shown]
	v_mul_f16_sdwa v27, v27, v43 dst_sel:DWORD dst_unused:UNUSED_PAD src0_sel:DWORD src1_sel:WORD_1
	v_fma_f16 v116, v105, v43, v27
	v_sub_f16_e32 v103, v69, v103
	v_fma_f16 v69, v69, 2.0, -v103
	s_waitcnt vmcnt(0)
	v_mul_f16_sdwa v27, v94, v72 dst_sel:DWORD dst_unused:UNUSED_PAD src0_sel:DWORD src1_sel:WORD_1
	v_fma_f16 v67, v26, v72, -v27
	v_mul_f16_sdwa v26, v26, v72 dst_sel:DWORD dst_unused:UNUSED_PAD src0_sel:DWORD src1_sel:WORD_1
	v_fma_f16 v52, v94, v72, v26
	v_mul_f16_sdwa v26, v89, v73 dst_sel:DWORD dst_unused:UNUSED_PAD src0_sel:DWORD src1_sel:WORD_1
	v_fma_f16 v122, v25, v73, -v26
	v_mul_f16_sdwa v25, v25, v73 dst_sel:DWORD dst_unused:UNUSED_PAD src0_sel:DWORD src1_sel:WORD_1
	v_fma_f16 v123, v89, v73, v25
	;; [unrolled: 4-line block ×3, first 2 shown]
	v_mul_u32_u24_sdwa v24, v44, s16 dst_sel:DWORD dst_unused:UNUSED_PAD src0_sel:WORD_0 src1_sel:DWORD
	v_lshrrev_b32_e32 v24, 23, v24
	buffer_store_dword v24, off, s[24:27], 0 offset:204 ; 4-byte Folded Spill
	v_mul_lo_u16_e32 v24, 0x8c, v24
	v_sub_u16_e32 v24, v44, v24
	buffer_store_dword v24, off, s[24:27], 0 offset:208 ; 4-byte Folded Spill
	v_mul_lo_u16_e32 v24, 60, v24
	v_add_co_u32_e32 v24, vcc, s14, v24
	v_addc_co_u32_e32 v25, vcc, 0, v97, vcc
	global_load_dwordx4 v[108:111], v[24:25], off offset:544
	v_sub_f16_e32 v67, v85, v67
	v_sub_f16_e32 v89, v86, v89
	;; [unrolled: 1-line block ×3, first 2 shown]
	v_fma_f16 v85, v85, 2.0, -v67
	v_sub_f16_e32 v105, v88, v121
	v_fma_f16 v86, v86, 2.0, -v89
	s_mov_b32 s16, 0xb9a8
	v_fma_f16 v87, v87, 2.0, -v52
	v_fma_f16 v88, v88, 2.0, -v105
	v_sub_f16_e32 v86, v69, v86
	v_sub_f16_e32 v105, v103, v105
	v_fma_f16 v69, v69, 2.0, -v86
	v_fma_f16 v103, v103, 2.0, -v105
	s_waitcnt vmcnt(0)
	v_mul_f16_sdwa v26, v96, v108 dst_sel:DWORD dst_unused:UNUSED_PAD src0_sel:DWORD src1_sel:WORD_1
	v_fma_f16 v94, v33, v108, -v26
	v_mul_f16_sdwa v26, v33, v108 dst_sel:DWORD dst_unused:UNUSED_PAD src0_sel:DWORD src1_sel:WORD_1
	v_fma_f16 v96, v96, v108, v26
	v_mul_f16_sdwa v26, v95, v109 dst_sel:DWORD dst_unused:UNUSED_PAD src0_sel:DWORD src1_sel:WORD_1
	v_fma_f16 v98, v34, v109, -v26
	v_mul_f16_sdwa v26, v34, v109 dst_sel:DWORD dst_unused:UNUSED_PAD src0_sel:DWORD src1_sel:WORD_1
	v_fma_f16 v99, v95, v109, v26
	;; [unrolled: 4-line block ×3, first 2 shown]
	v_mul_f16_sdwa v26, v106, v111 dst_sel:DWORD dst_unused:UNUSED_PAD src0_sel:DWORD src1_sel:WORD_1
	v_fma_f16 v100, v101, v111, -v26
	v_mul_f16_sdwa v26, v101, v111 dst_sel:DWORD dst_unused:UNUSED_PAD src0_sel:DWORD src1_sel:WORD_1
	buffer_store_dword v108, off, s[24:27], 0 offset:260 ; 4-byte Folded Spill
	s_nop 0
	buffer_store_dword v109, off, s[24:27], 0 offset:264 ; 4-byte Folded Spill
	buffer_store_dword v110, off, s[24:27], 0 offset:268 ; 4-byte Folded Spill
	;; [unrolled: 1-line block ×3, first 2 shown]
	global_load_dwordx4 v[32:35], v[24:25], off offset:560
	v_fma_f16 v101, v106, v111, v26
	s_waitcnt vmcnt(0)
	v_mul_f16_sdwa v26, v117, v32 dst_sel:DWORD dst_unused:UNUSED_PAD src0_sel:DWORD src1_sel:WORD_1
	v_fma_f16 v124, v46, v32, -v26
	v_mul_f16_sdwa v26, v46, v32 dst_sel:DWORD dst_unused:UNUSED_PAD src0_sel:DWORD src1_sel:WORD_1
	v_fma_f16 v125, v117, v32, v26
	v_mul_f16_sdwa v26, v120, v33 dst_sel:DWORD dst_unused:UNUSED_PAD src0_sel:DWORD src1_sel:WORD_1
	v_fma_f16 v127, v76, v33, -v26
	v_mul_f16_sdwa v26, v76, v33 dst_sel:DWORD dst_unused:UNUSED_PAD src0_sel:DWORD src1_sel:WORD_1
	v_fma_f16 v120, v120, v33, v26
	;; [unrolled: 4-line block ×3, first 2 shown]
	v_mul_f16_sdwa v26, v77, v35 dst_sel:DWORD dst_unused:UNUSED_PAD src0_sel:DWORD src1_sel:WORD_1
	v_fma_f16 v78, v45, v35, -v26
	v_mul_f16_sdwa v26, v45, v35 dst_sel:DWORD dst_unused:UNUSED_PAD src0_sel:DWORD src1_sel:WORD_1
	buffer_store_dword v32, off, s[24:27], 0 offset:276 ; 4-byte Folded Spill
	s_nop 0
	buffer_store_dword v33, off, s[24:27], 0 offset:280 ; 4-byte Folded Spill
	buffer_store_dword v34, off, s[24:27], 0 offset:284 ; 4-byte Folded Spill
	;; [unrolled: 1-line block ×3, first 2 shown]
	global_load_dwordx4 v[44:47], v[24:25], off offset:576
	v_fma_f16 v108, v77, v35, v26
	global_load_dwordx3 v[32:34], v[24:25], off offset:592
	v_sub_f16_e32 v77, v81, v113
	v_fma_f16 v81, v81, 2.0, -v77
	s_waitcnt vmcnt(1)
	v_mul_f16_sdwa v26, v54, v44 dst_sel:DWORD dst_unused:UNUSED_PAD src0_sel:DWORD src1_sel:WORD_1
	v_fma_f16 v106, v50, v44, -v26
	v_mul_f16_sdwa v26, v50, v44 dst_sel:DWORD dst_unused:UNUSED_PAD src0_sel:DWORD src1_sel:WORD_1
	v_fma_f16 v50, v54, v44, v26
	v_mul_f16_sdwa v26, v53, v45 dst_sel:DWORD dst_unused:UNUSED_PAD src0_sel:DWORD src1_sel:WORD_1
	v_fma_f16 v54, v49, v45, -v26
	v_mul_f16_sdwa v26, v49, v45 dst_sel:DWORD dst_unused:UNUSED_PAD src0_sel:DWORD src1_sel:WORD_1
	v_fma_f16 v53, v53, v45, v26
	;; [unrolled: 4-line block ×4, first 2 shown]
	v_sub_f16_e32 v51, v100, v51
	v_sub_f16_e32 v54, v98, v54
	;; [unrolled: 1-line block ×4, first 2 shown]
	v_fma_f16 v96, v96, 2.0, -v50
	v_sub_f16_e32 v49, v95, v49
	v_sub_f16_e32 v48, v97, v48
	v_fma_f16 v95, v95, 2.0, -v49
	v_fma_f16 v97, v97, 2.0, -v48
	s_waitcnt vmcnt(0)
	v_mul_f16_sdwa v26, v64, v33 dst_sel:DWORD dst_unused:UNUSED_PAD src0_sel:DWORD src1_sel:WORD_1
	v_mul_f16_sdwa v24, v65, v32 dst_sel:DWORD dst_unused:UNUSED_PAD src0_sel:DWORD src1_sel:WORD_1
	;; [unrolled: 1-line block ×3, first 2 shown]
	v_fma_f16 v26, v61, v33, -v26
	v_mul_f16_sdwa v27, v61, v33 dst_sel:DWORD dst_unused:UNUSED_PAD src0_sel:DWORD src1_sel:WORD_1
	v_mul_f16_sdwa v61, v63, v34 dst_sel:DWORD dst_unused:UNUSED_PAD src0_sel:DWORD src1_sel:WORD_1
	v_fma_f16 v24, v62, v32, -v24
	v_fma_f16 v25, v65, v32, v25
	v_fma_f16 v27, v64, v33, v27
	v_fma_f16 v61, v60, v34, -v61
	v_mul_f16_sdwa v60, v60, v34 dst_sel:DWORD dst_unused:UNUSED_PAD src0_sel:DWORD src1_sel:WORD_1
	buffer_store_dword v32, off, s[24:27], 0 offset:292 ; 4-byte Folded Spill
	s_nop 0
	buffer_store_dword v33, off, s[24:27], 0 offset:296 ; 4-byte Folded Spill
	buffer_store_dword v34, off, s[24:27], 0 offset:300 ; 4-byte Folded Spill
	v_sub_f16_e32 v62, v57, v92
	v_sub_f16_e32 v65, v83, v115
	;; [unrolled: 1-line block ×3, first 2 shown]
	v_fma_f16 v75, v83, 2.0, -v65
	v_sub_f16_e32 v83, v82, v114
	v_fma_f16 v91, v91, 2.0, -v92
	v_sub_f16_e32 v92, v77, v92
	v_fma_f16 v57, v57, 2.0, -v62
	v_fma_f16 v77, v77, 2.0, -v92
	;; [unrolled: 1-line block ×3, first 2 shown]
	v_sub_f16_e32 v75, v57, v75
	v_fma_f16 v57, v57, 2.0, -v75
	v_sub_f16_e32 v91, v82, v91
	v_fma_f16 v82, v82, 2.0, -v91
	;; [unrolled: 2-line block ×3, first 2 shown]
	v_sub_f16_e32 v26, v127, v26
	v_sub_f16_e32 v27, v120, v27
	v_sub_f16_e32 v61, v117, v61
	v_fma_f16 v60, v63, v34, v60
	v_sub_f16_e32 v63, v66, v93
	v_fma_f16 v64, v66, 2.0, -v63
	v_sub_f16_e32 v66, v84, v116
	v_fma_f16 v76, v84, 2.0, -v66
	v_sub_f16_e32 v84, v90, v122
	v_sub_f16_e32 v93, v68, v102
	;; [unrolled: 1-line block ×3, first 2 shown]
	v_fma_f16 v90, v90, 2.0, -v84
	v_sub_f16_e32 v102, v70, v104
	v_fma_f16 v68, v68, 2.0, -v93
	v_sub_f16_e32 v104, v71, v112
	v_add_f16_e32 v65, v63, v65
	v_fma_f16 v62, v62, 2.0, -v66
	v_add_f16_e32 v84, v83, v84
	v_fma_f16 v70, v70, 2.0, -v102
	v_fma_f16 v71, v71, 2.0, -v104
	;; [unrolled: 1-line block ×3, first 2 shown]
	v_sub_f16_e32 v90, v81, v90
	v_fma_f16 v83, v83, 2.0, -v84
	v_sub_f16_e32 v85, v68, v85
	v_sub_f16_e32 v52, v93, v52
	v_fma_f16 v110, v77, s16, v62
	v_sub_f16_e32 v76, v64, v76
	v_fma_f16 v81, v81, 2.0, -v90
	v_sub_f16_e32 v87, v70, v87
	v_fma_f16 v68, v68, 2.0, -v85
	v_add_f16_e32 v67, v102, v67
	v_fma_f16 v93, v93, 2.0, -v52
	v_sub_f16_e32 v88, v71, v88
	v_add_f16_e32 v89, v104, v89
	v_fma_f16 v111, v83, s16, v63
	v_fma_f16 v83, v83, s16, v110
	v_fma_f16 v110, v92, s18, v66
	v_fma_f16 v64, v64, 2.0, -v76
	v_fma_f16 v70, v70, 2.0, -v87
	v_fma_f16 v102, v102, 2.0, -v67
	v_fma_f16 v71, v71, 2.0, -v88
	v_fma_f16 v104, v104, 2.0, -v89
	v_sub_f16_e32 v81, v57, v81
	v_fma_f16 v77, v77, s18, v111
	v_fma_f16 v111, v84, s18, v65
	;; [unrolled: 1-line block ×3, first 2 shown]
	v_sub_f16_e32 v69, v68, v69
	v_fma_f16 v110, v103, s16, v93
	v_sub_f16_e32 v82, v64, v82
	v_fma_f16 v57, v57, 2.0, -v81
	v_fma_f16 v92, v92, s18, v111
	v_sub_f16_e32 v71, v70, v71
	v_fma_f16 v68, v68, 2.0, -v69
	v_fma_f16 v111, v104, s16, v102
	v_fma_f16 v104, v104, s16, v110
	v_fma_f16 v64, v64, 2.0, -v82
	v_fma_f16 v62, v62, 2.0, -v83
	;; [unrolled: 1-line block ×3, first 2 shown]
	v_fma_f16 v103, v103, s18, v111
	v_fma_f16 v93, v93, 2.0, -v104
	v_fma_f16 v110, v105, s18, v52
	v_sub_f16_e32 v68, v57, v68
	v_fma_f16 v63, v63, 2.0, -v77
	v_add_f16_e32 v90, v76, v90
	v_fma_f16 v102, v102, 2.0, -v103
	v_sub_f16_e32 v88, v85, v88
	v_add_f16_e32 v86, v87, v86
	v_fma_f16 v111, v89, s18, v67
	v_fma_f16 v89, v89, s16, v110
	v_sub_f16_e32 v70, v64, v70
	v_fma_f16 v110, v57, 2.0, -v68
	v_fma_f16 v57, v93, s19, v62
	v_fma_f16 v76, v76, 2.0, -v90
	v_fma_f16 v85, v85, 2.0, -v88
	;; [unrolled: 1-line block ×3, first 2 shown]
	v_fma_f16 v105, v105, s18, v111
	v_fma_f16 v111, v64, 2.0, -v70
	v_fma_f16 v64, v102, s19, v63
	v_fma_f16 v102, v102, s20, v57
	v_fma_f16 v66, v66, 2.0, -v84
	v_fma_f16 v65, v65, 2.0, -v92
	;; [unrolled: 1-line block ×5, first 2 shown]
	v_fma_f16 v57, v85, s16, v75
	v_fma_f16 v62, v87, s16, v76
	;; [unrolled: 1-line block ×21, first 2 shown]
	v_sub_f16_e32 v52, v55, v78
	v_sub_f16_e32 v57, v56, v108
	;; [unrolled: 1-line block ×3, first 2 shown]
	v_fma_f16 v113, v63, 2.0, -v93
	v_fma_f16 v55, v55, 2.0, -v52
	;; [unrolled: 1-line block ×10, first 2 shown]
	v_sub_f16_e32 v100, v94, v106
	v_sub_f16_e32 v101, v124, v24
	;; [unrolled: 1-line block ×5, first 2 shown]
	v_add_f16_e32 v118, v57, v51
	v_fma_f16 v94, v94, 2.0, -v100
	v_fma_f16 v108, v124, 2.0, -v101
	;; [unrolled: 1-line block ×5, first 2 shown]
	v_sub_f16_e32 v56, v52, v62
	v_fma_f16 v55, v57, 2.0, -v118
	v_sub_f16_e32 v57, v65, v98
	v_sub_f16_e32 v62, v78, v99
	;; [unrolled: 1-line block ×3, first 2 shown]
	v_fma_f16 v51, v52, 2.0, -v56
	v_fma_f16 v52, v65, 2.0, -v57
	;; [unrolled: 1-line block ×3, first 2 shown]
	v_sub_f16_e32 v78, v54, v27
	v_add_f16_e32 v98, v53, v26
	v_sub_f16_e32 v99, v94, v108
	v_sub_f16_e32 v108, v96, v109
	v_fma_f16 v116, v117, 2.0, -v61
	v_fma_f16 v117, v119, 2.0, -v60
	;; [unrolled: 1-line block ×5, first 2 shown]
	v_add_f16_e32 v96, v50, v101
	v_fma_f16 v27, v94, 2.0, -v99
	v_sub_f16_e32 v94, v100, v106
	v_fma_f16 v101, v50, 2.0, -v96
	v_sub_f16_e32 v106, v95, v116
	v_sub_f16_e32 v109, v97, v117
	;; [unrolled: 1-line block ×3, first 2 shown]
	v_add_f16_e32 v117, v48, v61
	v_fma_f16 v50, v54, s16, v51
	v_fma_f16 v60, v53, s16, v55
	v_fma_f16 v100, v100, 2.0, -v94
	v_fma_f16 v95, v95, 2.0, -v106
	;; [unrolled: 1-line block ×4, first 2 shown]
	v_sub_f16_e32 v49, v25, v52
	v_fma_f16 v52, v53, s16, v50
	v_fma_f16 v53, v54, s18, v60
	v_sub_f16_e32 v60, v63, v62
	v_add_f16_e32 v61, v64, v57
	v_fma_f16 v57, v78, s18, v56
	v_fma_f16 v62, v98, s18, v118
	v_sub_f16_e32 v48, v24, v65
	v_fma_f16 v50, v51, 2.0, -v52
	v_fma_f16 v51, v55, 2.0, -v53
	;; [unrolled: 1-line block ×3, first 2 shown]
	v_fma_f16 v64, v98, s16, v57
	v_fma_f16 v65, v78, s18, v62
	v_sub_f16_e32 v57, v27, v95
	v_fma_f16 v78, v119, s16, v100
	v_fma_f16 v95, v120, s16, v101
	v_fma_f16 v97, v97, 2.0, -v109
	v_fma_f16 v78, v120, s16, v78
	v_fma_f16 v95, v119, s18, v95
	v_fma_f16 v62, v56, 2.0, -v64
	v_sub_f16_e32 v56, v26, v97
	v_fma_f16 v97, v100, 2.0, -v78
	v_fma_f16 v98, v101, 2.0, -v95
	v_sub_f16_e32 v100, v99, v109
	v_add_f16_e32 v101, v108, v106
	v_fma_f16 v109, v117, s18, v96
	v_fma_f16 v106, v108, 2.0, -v101
	v_fma_f16 v108, v116, s18, v94
	v_fma_f16 v109, v116, s18, v109
	;; [unrolled: 1-line block ×3, first 2 shown]
	v_fma_f16 v54, v63, 2.0, -v60
	v_fma_f16 v99, v99, 2.0, -v100
	v_fma_f16 v108, v117, s16, v108
	v_fma_f16 v117, v98, s19, v51
	;; [unrolled: 1-line block ×3, first 2 shown]
	buffer_store_dword v32, off, s[24:27], 0 offset:16 ; 4-byte Folded Spill
	v_fma_f16 v32, v97, s21, v117
	v_fma_f16 v97, v99, s16, v54
	v_fma_f16 v94, v94, 2.0, -v108
	buffer_store_dword v32, off, s[24:27], 0 offset:20 ; 4-byte Folded Spill
	v_fma_f16 v98, v106, s16, v55
	v_fma_f16 v32, v106, s16, v97
	v_fma_f16 v63, v118, 2.0, -v65
	v_fma_f16 v96, v96, 2.0, -v109
	buffer_store_dword v32, off, s[24:27], 0 offset:24 ; 4-byte Folded Spill
	v_fma_f16 v32, v99, s18, v98
	v_fma_f16 v97, v94, s20, v62
	buffer_store_dword v32, off, s[24:27], 0 offset:32 ; 4-byte Folded Spill
	v_fma_f16 v98, v96, s20, v63
	v_fma_f16 v32, v96, s19, v97
	buffer_store_dword v32, off, s[24:27], 0 offset:28 ; 4-byte Folded Spill
	v_fma_f16 v32, v94, s22, v98
	buffer_store_dword v32, off, s[24:27], 0 offset:36 ; 4-byte Folded Spill
	v_sub_f16_e32 v32, v49, v56
	buffer_store_dword v32, off, s[24:27], 0 offset:232 ; 4-byte Folded Spill
	v_add_f16_e32 v32, v48, v57
	v_fma_f16 v94, v78, s21, v52
	buffer_store_dword v32, off, s[24:27], 0 offset:236 ; 4-byte Folded Spill
	v_fma_f16 v96, v95, s21, v53
	v_fma_f16 v32, v95, s19, v94
	buffer_store_dword v32, off, s[24:27], 0 offset:40 ; 4-byte Folded Spill
	v_fma_f16 v32, v78, s22, v96
	;; [unrolled: 3-line block ×5, first 2 shown]
	v_fma_f16 v32, v109, s20, v78
	s_movk_i32 s16, 0x8c0
	buffer_store_dword v32, off, s[24:27], 0 offset:44 ; 4-byte Folded Spill
	v_fma_f16 v32, v108, s21, v94
	v_mad_legacy_u16 v58, v58, s16, v59
	v_fma_f16 v75, v75, 2.0, -v87
	v_fma_f16 v76, v76, 2.0, -v85
	;; [unrolled: 1-line block ×3, first 2 shown]
	v_sub_f16_e32 v71, v81, v71
	v_add_f16_e32 v69, v82, v69
	buffer_store_dword v32, off, s[24:27], 0 offset:52 ; 4-byte Folded Spill
	v_lshlrev_b32_e32 v32, 2, v58
	v_pack_b32_f16 v58, v110, v111
	v_pack_b32_f16 v59, v112, v113
	v_fma_f16 v81, v81, 2.0, -v71
	v_fma_f16 v82, v82, 2.0, -v69
	;; [unrolled: 1-line block ×4, first 2 shown]
	s_waitcnt vmcnt(0)
	s_barrier
	ds_write2_b32 v32, v58, v59 offset1:140
	v_pack_b32_f16 v58, v75, v76
	v_pack_b32_f16 v59, v66, v115
	v_add_u32_e32 v66, 0x400, v32
	v_fma_f16 v91, v91, 2.0, -v86
	v_fma_f16 v90, v90, 2.0, -v88
	v_fma_f16 v84, v84, 2.0, -v105
	v_fma_f16 v92, v92, 2.0, -v89
	ds_write2_b32 v66, v58, v59 offset0:24 offset1:164
	v_pack_b32_f16 v58, v81, v82
	v_pack_b32_f16 v59, v83, v77
	v_add_u32_e32 v66, 0x800, v32
	ds_write2_b32 v66, v58, v59 offset0:48 offset1:188
	v_pack_b32_f16 v58, v91, v90
	v_pack_b32_f16 v59, v84, v92
	v_add_u32_e32 v66, 0xc00, v32
	ds_write2_b32 v66, v58, v59 offset0:72 offset1:212
	v_pack_b32_f16 v58, v68, v70
	v_pack_b32_f16 v59, v102, v93
	v_add_u32_e32 v66, 0x1000, v32
	ds_write2_b32 v66, v58, v59 offset0:96 offset1:236
	v_pack_b32_f16 v58, v87, v85
	v_pack_b32_f16 v59, v67, v114
	v_add_u32_e32 v66, 0x1500, v32
	ds_write2_b32 v66, v58, v59 offset0:56 offset1:196
	v_pack_b32_f16 v58, v71, v69
	v_pack_b32_f16 v59, v103, v104
	v_add_u32_e32 v66, 0x1a00, v32
	ds_write2_b32 v66, v58, v59 offset0:16 offset1:156
	v_pack_b32_f16 v58, v86, v88
	v_pack_b32_f16 v59, v105, v89
	v_add_u32_e32 v66, 0x1e00, v32
	buffer_store_dword v32, off, s[24:27], 0 offset:240 ; 4-byte Folded Spill
	ds_write2_b32 v66, v58, v59 offset0:40 offset1:180
	s_and_saveexec_b64 s[18:19], s[4:5]
	s_cbranch_execz .LBB0_15
; %bb.14:
	buffer_load_dword v67, off, s[24:27], 0 offset:44 ; 4-byte Folded Reload
	buffer_load_dword v35, off, s[24:27], 0 offset:40 ; 4-byte Folded Reload
	;; [unrolled: 1-line block ×14, first 2 shown]
	v_fma_f16 v25, v25, 2.0, -v49
	v_fma_f16 v27, v27, 2.0, -v57
	v_fma_f16 v24, v24, 2.0, -v48
	v_fma_f16 v26, v26, 2.0, -v56
	v_add_f16_e32 v66, v48, v57
	v_sub_f16_e32 v27, v25, v27
	v_sub_f16_e32 v26, v24, v26
	v_fma_f16 v25, v25, 2.0, -v27
	v_fma_f16 v24, v24, 2.0, -v26
	v_sub_f16_e32 v34, v49, v56
	v_pack_b32_f16 v24, v25, v24
	s_waitcnt vmcnt(13)
	v_fma_f16 v58, v64, 2.0, -v67
	s_waitcnt vmcnt(12)
	v_fma_f16 v52, v52, 2.0, -v35
	;; [unrolled: 2-line block ×5, first 2 shown]
	v_fma_f16 v65, v48, 2.0, -v66
	v_fma_f16 v64, v49, 2.0, -v34
	s_waitcnt vmcnt(6)
	v_fma_f16 v53, v53, 2.0, -v68
	s_waitcnt vmcnt(5)
	;; [unrolled: 2-line block ×6, first 2 shown]
	v_mad_legacy_u16 v48, v32, s16, v33
	v_lshlrev_b32_e32 v48, 2, v48
	v_pack_b32_f16 v25, v50, v51
	ds_write2_b32 v48, v24, v25 offset1:140
	v_pack_b32_f16 v24, v54, v55
	v_pack_b32_f16 v25, v62, v63
	v_add_u32_e32 v49, 0x400, v48
	v_fma_f16 v60, v60, 2.0, -v70
	v_fma_f16 v61, v61, 2.0, -v71
	ds_write2_b32 v49, v24, v25 offset0:24 offset1:164
	v_pack_b32_f16 v24, v64, v65
	v_pack_b32_f16 v25, v52, v53
	v_add_u32_e32 v49, 0x800, v48
	ds_write2_b32 v49, v24, v25 offset0:48 offset1:188
	v_pack_b32_f16 v24, v60, v61
	v_pack_b32_f16 v25, v58, v59
	v_add_u32_e32 v49, 0xc00, v48
	s_mov_b32 s16, 0x5040100
	ds_write2_b32 v49, v24, v25 offset0:72 offset1:212
	v_pack_b32_f16 v24, v27, v26
	v_perm_b32 v25, v76, v75, s16
	v_add_u32_e32 v26, 0x1000, v48
	ds_write2_b32 v26, v24, v25 offset0:96 offset1:236
	v_perm_b32 v24, v81, v77, s16
	v_perm_b32 v25, v82, v78, s16
	v_add_u32_e32 v26, 0x1500, v48
	ds_write2_b32 v26, v24, v25 offset0:56 offset1:196
	v_perm_b32 v24, v66, v34, s16
	;; [unrolled: 4-line block ×3, first 2 shown]
	v_perm_b32 v25, v69, v67, s16
	v_add_u32_e32 v26, 0x1e00, v48
	ds_write2_b32 v26, v24, v25 offset0:40 offset1:180
.LBB0_15:
	s_or_b64 exec, exec, s[18:19]
	v_mov_b32_e32 v24, s17
	v_addc_co_u32_e64 v90, vcc, 0, v24, s[6:7]
	v_lshlrev_b32_e32 v24, 2, v107
	v_add_co_u32_e32 v24, vcc, s14, v24
	v_mov_b32_e32 v67, s15
	v_addc_co_u32_e32 v25, vcc, 0, v67, vcc
	s_movk_i32 s6, 0x2000
	v_add_co_u32_e32 v24, vcc, s6, v24
	v_addc_co_u32_e32 v25, vcc, 0, v25, vcc
	s_waitcnt vmcnt(0) lgkmcnt(0)
	s_barrier
	global_load_dwordx4 v[48:51], v[24:25], off offset:752
	ds_read2st64_b32 v[68:69], v107 offset0:28 offset1:35
	ds_read2st64_b32 v[57:58], v107 offset0:70 offset1:77
	;; [unrolled: 1-line block ×5, first 2 shown]
	s_waitcnt lgkmcnt(4)
	v_lshrrev_b32_e32 v26, 16, v69
	s_waitcnt lgkmcnt(3)
	v_lshrrev_b32_e32 v27, 16, v57
	;; [unrolled: 2-line block ×4, first 2 shown]
	ds_read2st64_b32 v[59:60], v107 offset0:112 offset1:119
	s_waitcnt lgkmcnt(1)
	v_lshrrev_b32_e32 v78, 16, v61
	v_lshrrev_b32_e32 v77, 16, v58
	;; [unrolled: 1-line block ×3, first 2 shown]
	ds_read2st64_b32 v[65:66], v107 offset0:84 offset1:91
	s_waitcnt lgkmcnt(1)
	v_lshrrev_b32_e32 v76, 16, v59
	v_lshrrev_b32_e32 v106, 16, v62
	ds_read2st64_b32 v[63:64], v107 offset0:154 offset1:161
	v_lshrrev_b32_e32 v110, 16, v60
	s_waitcnt lgkmcnt(1)
	v_lshrrev_b32_e32 v111, 16, v65
	ds_read2st64_b32 v[87:88], v107 offset0:56 offset1:63
	ds_read2st64_b32 v[85:86], v107 offset0:126 offset1:133
	s_waitcnt lgkmcnt(2)
	v_lshrrev_b32_e32 v103, 16, v63
	v_lshrrev_b32_e32 v115, 16, v66
	;; [unrolled: 1-line block ×3, first 2 shown]
	s_waitcnt lgkmcnt(1)
	v_lshrrev_b32_e32 v104, 16, v87
	s_waitcnt lgkmcnt(0)
	v_lshrrev_b32_e32 v105, 16, v85
	v_lshrrev_b32_e32 v100, 16, v88
	ds_read_b32 v96, v107 offset:43008
	v_lshrrev_b32_e32 v99, 16, v83
	ds_read2st64_b32 v[81:82], v107 offset1:7
	v_lshrrev_b32_e32 v98, 16, v86
	s_movk_i32 s7, 0x3b9c
	s_waitcnt lgkmcnt(1)
	v_lshrrev_b32_e32 v97, 16, v96
	s_mov_b32 s15, 0xbb9c
	s_mov_b32 s16, 0xb8b4
	s_waitcnt lgkmcnt(0)
	v_lshrrev_b32_e32 v95, 16, v81
	v_lshrrev_b32_e32 v94, 16, v82
	ds_read2st64_b32 v[70:71], v107 offset0:14 offset1:21
	v_lshrrev_b32_e32 v34, 16, v68
	s_waitcnt lgkmcnt(0)
	v_lshrrev_b32_e32 v93, 16, v70
	v_lshrrev_b32_e32 v92, 16, v71
	s_waitcnt vmcnt(0)
	v_mul_f16_sdwa v24, v26, v48 dst_sel:DWORD dst_unused:UNUSED_PAD src0_sel:DWORD src1_sel:WORD_1
	v_fma_f16 v102, v69, v48, -v24
	v_mul_f16_sdwa v24, v69, v48 dst_sel:DWORD dst_unused:UNUSED_PAD src0_sel:DWORD src1_sel:WORD_1
	v_fma_f16 v69, v26, v48, v24
	v_mul_f16_sdwa v24, v27, v49 dst_sel:DWORD dst_unused:UNUSED_PAD src0_sel:DWORD src1_sel:WORD_1
	v_fma_f16 v120, v57, v49, -v24
	v_mul_f16_sdwa v24, v57, v49 dst_sel:DWORD dst_unused:UNUSED_PAD src0_sel:DWORD src1_sel:WORD_1
	v_fma_f16 v89, v27, v49, v24
	;; [unrolled: 4-line block ×4, first 2 shown]
	buffer_load_dword v24, off, s[24:27], 0 offset:252 ; 4-byte Folded Reload
	v_sub_f16_e32 v27, v89, v84
	v_sub_f16_e32 v91, v121, v122
	s_waitcnt vmcnt(0)
	v_lshlrev_b32_e32 v24, 2, v24
	v_add_co_u32_e32 v24, vcc, s14, v24
	v_addc_co_u32_e32 v25, vcc, 0, v67, vcc
	v_add_co_u32_e32 v24, vcc, s6, v24
	v_addc_co_u32_e32 v25, vcc, 0, v25, vcc
	global_load_dwordx4 v[52:55], v[24:25], off offset:752
	s_waitcnt vmcnt(0)
	v_mul_f16_sdwa v24, v78, v52 dst_sel:DWORD dst_unused:UNUSED_PAD src0_sel:DWORD src1_sel:WORD_1
	v_fma_f16 v127, v61, v52, -v24
	v_mul_f16_sdwa v24, v61, v52 dst_sel:DWORD dst_unused:UNUSED_PAD src0_sel:DWORD src1_sel:WORD_1
	v_fma_f16 v123, v78, v52, v24
	v_mul_f16_sdwa v24, v77, v53 dst_sel:DWORD dst_unused:UNUSED_PAD src0_sel:DWORD src1_sel:WORD_1
	v_fma_f16 v113, v58, v53, -v24
	v_mul_f16_sdwa v24, v58, v53 dst_sel:DWORD dst_unused:UNUSED_PAD src0_sel:DWORD src1_sel:WORD_1
	v_fma_f16 v124, v77, v53, v24
	v_mul_f16_sdwa v24, v76, v54 dst_sel:DWORD dst_unused:UNUSED_PAD src0_sel:DWORD src1_sel:WORD_1
	v_fma_f16 v114, v59, v54, -v24
	v_mul_f16_sdwa v24, v59, v54 dst_sel:DWORD dst_unused:UNUSED_PAD src0_sel:DWORD src1_sel:WORD_1
	v_fma_f16 v125, v76, v54, v24
	v_mul_f16_sdwa v24, v75, v55 dst_sel:DWORD dst_unused:UNUSED_PAD src0_sel:DWORD src1_sel:WORD_1
	v_fma_f16 v78, v56, v55, -v24
	v_mul_f16_sdwa v24, v56, v55 dst_sel:DWORD dst_unused:UNUSED_PAD src0_sel:DWORD src1_sel:WORD_1
	v_fma_f16 v126, v75, v55, v24
	buffer_load_dword v24, off, s[24:27], 0 offset:248 ; 4-byte Folded Reload
	s_waitcnt vmcnt(0)
	v_lshlrev_b32_e32 v24, 2, v24
	v_add_co_u32_e32 v24, vcc, s14, v24
	v_addc_co_u32_e32 v25, vcc, 0, v67, vcc
	v_add_co_u32_e32 v24, vcc, s6, v24
	v_addc_co_u32_e32 v25, vcc, 0, v25, vcc
	global_load_dwordx4 v[56:59], v[24:25], off offset:752
	s_waitcnt vmcnt(0)
	v_mul_f16_sdwa v24, v106, v56 dst_sel:DWORD dst_unused:UNUSED_PAD src0_sel:DWORD src1_sel:WORD_1
	v_fma_f16 v109, v62, v56, -v24
	v_mul_f16_sdwa v24, v62, v56 dst_sel:DWORD dst_unused:UNUSED_PAD src0_sel:DWORD src1_sel:WORD_1
	v_fma_f16 v108, v106, v56, v24
	v_mul_f16_sdwa v24, v111, v57 dst_sel:DWORD dst_unused:UNUSED_PAD src0_sel:DWORD src1_sel:WORD_1
	v_fma_f16 v106, v65, v57, -v24
	v_mul_f16_sdwa v24, v65, v57 dst_sel:DWORD dst_unused:UNUSED_PAD src0_sel:DWORD src1_sel:WORD_1
	v_fma_f16 v116, v111, v57, v24
	v_mul_f16_sdwa v24, v110, v58 dst_sel:DWORD dst_unused:UNUSED_PAD src0_sel:DWORD src1_sel:WORD_1
	v_fma_f16 v112, v60, v58, -v24
	v_mul_f16_sdwa v24, v60, v58 dst_sel:DWORD dst_unused:UNUSED_PAD src0_sel:DWORD src1_sel:WORD_1
	v_fma_f16 v110, v110, v58, v24
	v_mul_f16_sdwa v24, v103, v59 dst_sel:DWORD dst_unused:UNUSED_PAD src0_sel:DWORD src1_sel:WORD_1
	v_fma_f16 v119, v63, v59, -v24
	v_mul_f16_sdwa v24, v63, v59 dst_sel:DWORD dst_unused:UNUSED_PAD src0_sel:DWORD src1_sel:WORD_1
	v_fma_f16 v111, v103, v59, v24
	buffer_load_dword v24, off, s[24:27], 0 offset:244 ; 4-byte Folded Reload
	s_waitcnt vmcnt(0)
	v_lshlrev_b32_e32 v24, 2, v24
	v_add_co_u32_e32 v24, vcc, s14, v24
	v_addc_co_u32_e32 v25, vcc, 0, v67, vcc
	v_add_co_u32_e32 v24, vcc, s6, v24
	v_addc_co_u32_e32 v25, vcc, 0, v25, vcc
	global_load_dwordx4 v[60:63], v[24:25], off offset:752
	s_waitcnt vmcnt(0)
	v_mul_f16_sdwa v24, v104, v60 dst_sel:DWORD dst_unused:UNUSED_PAD src0_sel:DWORD src1_sel:WORD_1
	v_fma_f16 v103, v87, v60, -v24
	v_mul_f16_sdwa v24, v87, v60 dst_sel:DWORD dst_unused:UNUSED_PAD src0_sel:DWORD src1_sel:WORD_1
	v_fma_f16 v87, v104, v60, v24
	v_mul_f16_sdwa v24, v115, v61 dst_sel:DWORD dst_unused:UNUSED_PAD src0_sel:DWORD src1_sel:WORD_1
	v_fma_f16 v104, v66, v61, -v24
	v_mul_f16_sdwa v24, v66, v61 dst_sel:DWORD dst_unused:UNUSED_PAD src0_sel:DWORD src1_sel:WORD_1
	v_fma_f16 v117, v115, v61, v24
	v_mul_f16_sdwa v24, v105, v62 dst_sel:DWORD dst_unused:UNUSED_PAD src0_sel:DWORD src1_sel:WORD_1
	v_fma_f16 v115, v85, v62, -v24
	v_mul_f16_sdwa v24, v85, v62 dst_sel:DWORD dst_unused:UNUSED_PAD src0_sel:DWORD src1_sel:WORD_1
	v_fma_f16 v85, v105, v62, v24
	v_mul_f16_sdwa v24, v118, v63 dst_sel:DWORD dst_unused:UNUSED_PAD src0_sel:DWORD src1_sel:WORD_1
	v_fma_f16 v105, v64, v63, -v24
	v_mul_f16_sdwa v24, v64, v63 dst_sel:DWORD dst_unused:UNUSED_PAD src0_sel:DWORD src1_sel:WORD_1
	v_fma_f16 v118, v118, v63, v24
	buffer_load_dword v24, off, s[24:27], 0 offset:12 ; 4-byte Folded Reload
	s_waitcnt vmcnt(0)
	v_add_co_u32_e32 v24, vcc, s14, v24
	v_addc_co_u32_e32 v25, vcc, 0, v67, vcc
	v_add_co_u32_e32 v24, vcc, s6, v24
	v_addc_co_u32_e32 v25, vcc, 0, v25, vcc
	global_load_dwordx4 v[64:67], v[24:25], off offset:752
	v_sub_f16_e32 v25, v69, v101
	s_movk_i32 s6, 0x38b4
	s_movk_i32 s14, 0x34f2
	s_waitcnt vmcnt(0)
	v_mul_f16_sdwa v24, v100, v64 dst_sel:DWORD dst_unused:UNUSED_PAD src0_sel:DWORD src1_sel:WORD_1
	v_fma_f16 v75, v88, v64, -v24
	v_mul_f16_sdwa v24, v88, v64 dst_sel:DWORD dst_unused:UNUSED_PAD src0_sel:DWORD src1_sel:WORD_1
	v_fma_f16 v100, v100, v64, v24
	v_mul_f16_sdwa v24, v99, v65 dst_sel:DWORD dst_unused:UNUSED_PAD src0_sel:DWORD src1_sel:WORD_1
	v_fma_f16 v76, v83, v65, -v24
	v_mul_f16_sdwa v24, v83, v65 dst_sel:DWORD dst_unused:UNUSED_PAD src0_sel:DWORD src1_sel:WORD_1
	v_fma_f16 v83, v99, v65, v24
	;; [unrolled: 4-line block ×4, first 2 shown]
	v_add_f16_e32 v24, v81, v102
	v_add_f16_e32 v24, v24, v120
	;; [unrolled: 1-line block ×5, first 2 shown]
	v_fma_f16 v24, v24, -0.5, v81
	v_fma_f16 v26, v25, s7, v24
	v_sub_f16_e32 v98, v102, v120
	v_sub_f16_e32 v99, v122, v121
	v_fma_f16 v24, v25, s15, v24
	v_fma_f16 v26, v27, s6, v26
	v_add_f16_e32 v98, v98, v99
	v_fma_f16 v24, v27, s16, v24
	v_fma_f16 v99, v98, s14, v26
	;; [unrolled: 1-line block ×3, first 2 shown]
	v_add_f16_e32 v24, v102, v122
	v_fma_f16 v24, v24, -0.5, v81
	v_fma_f16 v26, v27, s15, v24
	v_sub_f16_e32 v81, v120, v102
	v_fma_f16 v26, v25, s6, v26
	v_add_f16_e32 v91, v81, v91
	v_fma_f16 v81, v91, s14, v26
	v_fma_f16 v24, v27, s7, v24
	v_add_f16_e32 v26, v89, v84
	v_fma_f16 v24, v25, s16, v24
	v_fma_f16 v26, v26, -0.5, v95
	v_sub_f16_e32 v27, v102, v122
	v_fma_f16 v24, v91, s14, v24
	v_fma_f16 v91, v27, s15, v26
	v_sub_f16_e32 v102, v120, v121
	v_sub_f16_e32 v120, v69, v89
	v_sub_f16_e32 v121, v101, v84
	v_fma_f16 v26, v27, s7, v26
	v_fma_f16 v91, v102, s16, v91
	v_add_f16_e32 v120, v120, v121
	v_fma_f16 v26, v102, s6, v26
	v_fma_f16 v91, v120, s14, v91
	;; [unrolled: 1-line block ×3, first 2 shown]
	v_add_f16_e32 v120, v69, v101
	v_add_f16_e32 v25, v95, v69
	v_fma_f16 v95, v120, -0.5, v95
	v_add_f16_e32 v25, v25, v89
	v_fma_f16 v120, v102, s7, v95
	v_sub_f16_e32 v69, v89, v69
	v_fma_f16 v89, v102, s15, v95
	v_add_f16_e32 v25, v25, v84
	v_fma_f16 v120, v27, s16, v120
	v_sub_f16_e32 v84, v84, v101
	v_fma_f16 v27, v27, s6, v89
	v_add_f16_e32 v89, v113, v114
	v_add_f16_e32 v69, v69, v84
	v_fma_f16 v89, v89, -0.5, v82
	v_sub_f16_e32 v95, v123, v126
	v_add_f16_e32 v25, v25, v101
	v_fma_f16 v84, v69, s14, v120
	v_fma_f16 v101, v95, s7, v89
	v_sub_f16_e32 v102, v124, v125
	v_sub_f16_e32 v120, v127, v113
	;; [unrolled: 1-line block ×3, first 2 shown]
	v_fma_f16 v89, v95, s15, v89
	v_fma_f16 v101, v102, s6, v101
	v_add_f16_e32 v120, v120, v121
	v_fma_f16 v89, v102, s16, v89
	v_fma_f16 v27, v69, s14, v27
	v_add_f16_e32 v69, v82, v127
	;; [unrolled: 3-line block ×3, first 2 shown]
	v_add_f16_e32 v69, v69, v113
	v_fma_f16 v82, v120, -0.5, v82
	v_add_f16_e32 v69, v69, v114
	v_fma_f16 v120, v102, s15, v82
	v_sub_f16_e32 v121, v113, v127
	v_sub_f16_e32 v122, v114, v78
	v_fma_f16 v82, v102, s7, v82
	v_add_f16_e32 v102, v124, v125
	v_add_f16_e32 v69, v69, v78
	v_fma_f16 v120, v95, s6, v120
	v_add_f16_e32 v121, v121, v122
	v_fma_f16 v102, v102, -0.5, v94
	v_sub_f16_e32 v78, v127, v78
	v_fma_f16 v122, v121, s14, v120
	v_fma_f16 v82, v95, s16, v82
	;; [unrolled: 1-line block ×3, first 2 shown]
	v_sub_f16_e32 v113, v113, v114
	v_fma_f16 v82, v121, s14, v82
	v_fma_f16 v114, v113, s16, v120
	v_sub_f16_e32 v120, v123, v124
	v_sub_f16_e32 v121, v126, v125
	v_fma_f16 v102, v78, s7, v102
	v_add_f16_e32 v120, v120, v121
	v_fma_f16 v102, v113, s6, v102
	v_fma_f16 v114, v120, s14, v114
	;; [unrolled: 1-line block ×3, first 2 shown]
	v_add_f16_e32 v120, v123, v126
	v_add_f16_e32 v95, v94, v123
	v_fma_f16 v94, v120, -0.5, v94
	v_fma_f16 v120, v113, s7, v94
	v_sub_f16_e32 v121, v124, v123
	v_sub_f16_e32 v123, v125, v126
	v_add_f16_e32 v95, v95, v124
	v_fma_f16 v120, v78, s16, v120
	v_add_f16_e32 v121, v121, v123
	v_fma_f16 v94, v113, s15, v94
	v_add_f16_e32 v113, v106, v112
	v_add_f16_e32 v95, v95, v125
	v_fma_f16 v123, v121, s14, v120
	v_fma_f16 v78, v78, s6, v94
	v_fma_f16 v113, v113, -0.5, v70
	v_sub_f16_e32 v120, v108, v111
	v_add_f16_e32 v95, v95, v126
	v_fma_f16 v78, v121, s14, v78
	v_fma_f16 v121, v120, s7, v113
	v_sub_f16_e32 v124, v116, v110
	v_sub_f16_e32 v125, v109, v106
	v_sub_f16_e32 v126, v119, v112
	v_fma_f16 v113, v120, s15, v113
	v_fma_f16 v121, v124, s6, v121
	v_add_f16_e32 v125, v125, v126
	v_fma_f16 v113, v124, s16, v113
	v_fma_f16 v121, v125, s14, v121
	v_fma_f16 v113, v125, s14, v113
	v_add_f16_e32 v125, v109, v119
	v_add_f16_e32 v94, v70, v109
	v_fma_f16 v70, v125, -0.5, v70
	v_fma_f16 v125, v124, s15, v70
	v_fma_f16 v70, v124, s7, v70
	v_fma_f16 v125, v120, s6, v125
	v_fma_f16 v70, v120, s16, v70
	v_add_f16_e32 v120, v93, v108
	v_add_f16_e32 v120, v120, v116
	;; [unrolled: 1-line block ×7, first 2 shown]
	v_sub_f16_e32 v126, v106, v109
	v_sub_f16_e32 v127, v112, v119
	v_fma_f16 v120, v120, -0.5, v93
	v_sub_f16_e32 v109, v109, v119
	v_add_f16_e32 v94, v94, v119
	v_add_f16_e32 v126, v126, v127
	v_fma_f16 v119, v109, s15, v120
	v_sub_f16_e32 v106, v106, v112
	v_fma_f16 v125, v126, s14, v125
	v_fma_f16 v70, v126, s14, v70
	;; [unrolled: 1-line block ×3, first 2 shown]
	v_sub_f16_e32 v119, v108, v116
	v_sub_f16_e32 v126, v111, v110
	v_fma_f16 v120, v109, s7, v120
	v_add_f16_e32 v119, v119, v126
	v_fma_f16 v120, v106, s6, v120
	v_fma_f16 v112, v119, s14, v112
	;; [unrolled: 1-line block ×3, first 2 shown]
	v_add_f16_e32 v120, v108, v111
	v_fma_f16 v93, v120, -0.5, v93
	v_fma_f16 v120, v106, s7, v93
	v_sub_f16_e32 v108, v116, v108
	v_sub_f16_e32 v110, v110, v111
	v_fma_f16 v93, v106, s15, v93
	v_fma_f16 v120, v109, s16, v120
	v_add_f16_e32 v108, v108, v110
	v_fma_f16 v93, v109, s6, v93
	v_fma_f16 v110, v108, s14, v120
	;; [unrolled: 1-line block ×3, first 2 shown]
	v_add_f16_e32 v108, v104, v115
	v_fma_f16 v108, v108, -0.5, v71
	v_sub_f16_e32 v109, v87, v118
	v_fma_f16 v111, v109, s7, v108
	v_sub_f16_e32 v116, v117, v85
	v_sub_f16_e32 v120, v103, v104
	v_sub_f16_e32 v126, v105, v115
	v_fma_f16 v108, v109, s15, v108
	v_fma_f16 v111, v116, s6, v111
	v_add_f16_e32 v120, v120, v126
	v_fma_f16 v108, v116, s16, v108
	v_fma_f16 v111, v120, s14, v111
	;; [unrolled: 1-line block ×3, first 2 shown]
	v_add_f16_e32 v120, v103, v105
	v_add_f16_e32 v106, v71, v103
	v_fma_f16 v71, v120, -0.5, v71
	v_add_f16_e32 v106, v106, v104
	v_fma_f16 v120, v116, s15, v71
	v_sub_f16_e32 v126, v104, v103
	v_sub_f16_e32 v127, v115, v105
	v_fma_f16 v71, v116, s7, v71
	v_add_f16_e32 v116, v117, v85
	v_add_f16_e32 v106, v106, v115
	v_fma_f16 v120, v109, s6, v120
	v_add_f16_e32 v126, v126, v127
	v_fma_f16 v116, v116, -0.5, v92
	v_sub_f16_e32 v103, v103, v105
	v_add_f16_e32 v106, v106, v105
	v_fma_f16 v127, v126, s14, v120
	v_fma_f16 v105, v103, s15, v116
	v_sub_f16_e32 v104, v104, v115
	v_sub_f16_e32 v115, v87, v117
	;; [unrolled: 1-line block ×3, first 2 shown]
	v_fma_f16 v116, v103, s7, v116
	v_fma_f16 v105, v104, s16, v105
	v_add_f16_e32 v115, v115, v120
	v_fma_f16 v116, v104, s6, v116
	v_fma_f16 v105, v115, s14, v105
	;; [unrolled: 1-line block ×3, first 2 shown]
	v_add_f16_e32 v116, v87, v118
	v_fma_f16 v71, v109, s16, v71
	v_add_f16_e32 v109, v92, v87
	v_fma_f16 v92, v116, -0.5, v92
	v_add_f16_e32 v109, v109, v117
	v_fma_f16 v116, v104, s7, v92
	v_fma_f16 v92, v104, s15, v92
	v_add_f16_e32 v109, v109, v85
	v_fma_f16 v116, v103, s16, v116
	v_sub_f16_e32 v87, v117, v87
	v_sub_f16_e32 v85, v85, v118
	v_fma_f16 v92, v103, s6, v92
	v_add_f16_e32 v103, v76, v77
	v_add_f16_e32 v85, v87, v85
	v_fma_f16 v103, v103, -0.5, v68
	v_sub_f16_e32 v104, v100, v97
	v_add_f16_e32 v109, v109, v118
	v_fma_f16 v87, v85, s14, v116
	v_fma_f16 v116, v104, s7, v103
	v_sub_f16_e32 v117, v83, v86
	v_sub_f16_e32 v118, v75, v76
	;; [unrolled: 1-line block ×3, first 2 shown]
	v_fma_f16 v103, v104, s15, v103
	v_fma_f16 v116, v117, s6, v116
	v_add_f16_e32 v118, v118, v120
	v_fma_f16 v103, v117, s16, v103
	v_fma_f16 v116, v118, s14, v116
	;; [unrolled: 1-line block ×3, first 2 shown]
	v_add_f16_e32 v118, v75, v88
	v_fma_f16 v85, v85, s14, v92
	v_add_f16_e32 v92, v68, v75
	v_fma_f16 v68, v118, -0.5, v68
	v_add_f16_e32 v92, v92, v76
	v_fma_f16 v118, v117, s15, v68
	v_fma_f16 v68, v117, s7, v68
	v_add_f16_e32 v117, v83, v86
	v_fma_f16 v71, v126, s14, v71
	v_add_f16_e32 v92, v92, v77
	v_sub_f16_e32 v120, v76, v75
	v_sub_f16_e32 v126, v77, v88
	v_fma_f16 v117, v117, -0.5, v34
	v_sub_f16_e32 v75, v75, v88
	v_add_f16_e32 v92, v92, v88
	v_fma_f16 v118, v104, s6, v118
	v_add_f16_e32 v120, v120, v126
	v_fma_f16 v68, v104, s16, v68
	v_fma_f16 v88, v75, s15, v117
	v_sub_f16_e32 v76, v76, v77
	v_fma_f16 v118, v120, s14, v118
	v_fma_f16 v68, v120, s14, v68
	;; [unrolled: 1-line block ×3, first 2 shown]
	v_sub_f16_e32 v88, v100, v83
	v_sub_f16_e32 v120, v97, v86
	v_fma_f16 v117, v75, s7, v117
	v_add_f16_e32 v88, v88, v120
	v_fma_f16 v117, v76, s6, v117
	v_fma_f16 v77, v88, s14, v77
	v_fma_f16 v33, v88, s14, v117
	v_add_f16_e32 v88, v100, v97
	v_fma_f16 v88, v88, -0.5, v34
	v_fma_f16 v117, v76, s7, v88
	v_fma_f16 v76, v76, s15, v88
	v_pack_b32_f16 v24, v24, v27
	v_fma_f16 v117, v75, s16, v117
	v_fma_f16 v75, v75, s6, v76
	v_pack_b32_f16 v76, v99, v91
	ds_write_b32 v107, v24 offset:26880
	v_pack_b32_f16 v24, v98, v26
	v_pack_b32_f16 v25, v96, v25
	ds_write_b32 v107, v76 offset:8960
	v_pack_b32_f16 v76, v81, v84
	ds_write_b32 v107, v24 offset:35840
	;; [unrolled: 2-line block ×3, first 2 shown]
	ds_write2st64_b32 v107, v25, v24 offset1:7
	v_pack_b32_f16 v24, v101, v114
	v_pack_b32_f16 v76, v121, v112
	;; [unrolled: 1-line block ×3, first 2 shown]
	ds_write2st64_b32 v107, v24, v76 offset0:42 offset1:49
	v_pack_b32_f16 v24, v125, v110
	v_pack_b32_f16 v26, v82, v78
	ds_write2st64_b32 v107, v25, v24 offset0:77 offset1:84
	v_pack_b32_f16 v24, v70, v93
	v_add_f16_e32 v104, v34, v100
	v_pack_b32_f16 v27, v89, v102
	ds_write2st64_b32 v107, v26, v24 offset0:112 offset1:119
	v_pack_b32_f16 v24, v113, v119
	v_add_f16_e32 v104, v104, v83
	v_pack_b32_f16 v69, v94, v124
	ds_write2st64_b32 v107, v27, v24 offset0:147 offset1:154
	v_pack_b32_f16 v24, v106, v109
	v_pack_b32_f16 v25, v127, v87
	v_add_f16_e32 v104, v104, v86
	ds_write2st64_b32 v107, v69, v24 offset0:14 offset1:21
	ds_write_b32 v107, v25 offset:23296
	v_pack_b32_f16 v25, v71, v85
	v_add_f16_e32 v104, v104, v97
	v_sub_f16_e32 v83, v83, v100
	v_sub_f16_e32 v86, v86, v97
	ds_write_b32 v107, v25 offset:32256
	v_pack_b32_f16 v25, v108, v115
	v_add_f16_e32 v83, v83, v86
	ds_write_b32 v107, v25 offset:41216
	v_pack_b32_f16 v25, v92, v104
	v_fma_f16 v86, v83, s14, v117
	v_pack_b32_f16 v24, v111, v105
	ds_write_b32 v107, v25 offset:7168
	v_pack_b32_f16 v25, v116, v77
	v_fma_f16 v75, v83, s14, v75
	ds_write2st64_b32 v107, v24, v25 offset0:56 offset1:63
	v_pack_b32_f16 v24, v118, v86
	v_mov_b32_e32 v105, v32
	v_mov_b32_e32 v108, v33
	ds_write_b32 v107, v24 offset:25088
	v_pack_b32_f16 v24, v68, v75
	ds_write_b32 v107, v24 offset:34048
	v_pack_b32_f16 v24, v105, v108
	ds_write_b32 v107, v24 offset:43008
	s_waitcnt lgkmcnt(0)
	s_barrier
	buffer_load_dword v32, off, s[24:27], 0 ; 4-byte Folded Reload
	s_mov_b32 s6, 0xaf00
	ds_read2st64_b32 v[24:25], v107 offset1:7
	v_add_u32_e32 v83, 0xc0, v107
	v_add_u32_e32 v84, 0x80, v107
	;; [unrolled: 1-line block ×3, first 2 shown]
	s_waitcnt lgkmcnt(0)
	v_lshrrev_b32_e32 v70, 16, v24
	s_waitcnt vmcnt(0)
	v_add_co_u32_e32 v68, vcc, s6, v32
	v_addc_co_u32_e32 v69, vcc, 0, v90, vcc
	s_mov_b32 s6, 0xa000
	v_add_co_u32_e32 v26, vcc, s6, v32
	v_addc_co_u32_e32 v27, vcc, 0, v90, vcc
	global_load_dword v26, v[26:27], off offset:3840
	s_mov_b32 s6, 0xd000
	s_waitcnt vmcnt(0)
	v_mul_f16_sdwa v27, v70, v26 dst_sel:DWORD dst_unused:UNUSED_PAD src0_sel:DWORD src1_sel:WORD_1
	v_fma_f16 v27, v24, v26, -v27
	v_mul_f16_sdwa v24, v24, v26 dst_sel:DWORD dst_unused:UNUSED_PAD src0_sel:DWORD src1_sel:WORD_1
	v_fma_f16 v24, v70, v26, v24
	v_add_co_u32_e32 v70, vcc, s6, v32
	v_addc_co_u32_e32 v71, vcc, 0, v90, vcc
	global_load_dword v75, v[70:71], off offset:2752
	s_mov_b32 s6, 0x10000
	v_add_co_u32_e32 v77, vcc, s6, v32
	v_addc_co_u32_e32 v78, vcc, 0, v90, vcc
	global_load_dword v81, v[77:78], off offset:1664
	v_pack_b32_f16 v24, v27, v24
	ds_write_b32 v107, v24
	ds_read2st64_b32 v[26:27], v83 offset0:43 offset1:50
	s_mov_b32 s6, 0x13000
	v_add_co_u32_e32 v88, vcc, s6, v32
	v_addc_co_u32_e32 v89, vcc, 0, v90, vcc
	s_waitcnt lgkmcnt(0)
	v_lshrrev_b32_e32 v24, 16, v26
	ds_read2st64_b32 v[86:87], v85 offset0:131 offset1:138
	global_load_dword v70, v[70:71], off offset:512
	s_mov_b32 s6, 0xe000
	s_waitcnt vmcnt(2)
	v_mul_f16_sdwa v76, v24, v75 dst_sel:DWORD dst_unused:UNUSED_PAD src0_sel:DWORD src1_sel:WORD_1
	v_fma_f16 v76, v26, v75, -v76
	v_mul_f16_sdwa v26, v26, v75 dst_sel:DWORD dst_unused:UNUSED_PAD src0_sel:DWORD src1_sel:WORD_1
	v_fma_f16 v24, v24, v75, v26
	v_pack_b32_f16 v24, v76, v24
	ds_read2st64_b32 v[75:76], v84 offset0:87 offset1:94
	s_waitcnt lgkmcnt(0)
	v_lshrrev_b32_e32 v26, 16, v75
	s_waitcnt vmcnt(1)
	v_mul_f16_sdwa v82, v26, v81 dst_sel:DWORD dst_unused:UNUSED_PAD src0_sel:DWORD src1_sel:WORD_1
	v_fma_f16 v82, v75, v81, -v82
	v_mul_f16_sdwa v75, v75, v81 dst_sel:DWORD dst_unused:UNUSED_PAD src0_sel:DWORD src1_sel:WORD_1
	v_fma_f16 v26, v26, v81, v75
	global_load_dword v81, v[88:89], off offset:576
	v_lshrrev_b32_e32 v75, 16, v86
	v_pack_b32_f16 v26, v82, v26
	s_waitcnt vmcnt(0)
	v_mul_f16_sdwa v82, v75, v81 dst_sel:DWORD dst_unused:UNUSED_PAD src0_sel:DWORD src1_sel:WORD_1
	v_fma_f16 v82, v86, v81, -v82
	v_mul_f16_sdwa v86, v86, v81 dst_sel:DWORD dst_unused:UNUSED_PAD src0_sel:DWORD src1_sel:WORD_1
	v_fma_f16 v75, v75, v81, v86
	v_pack_b32_f16 v75, v82, v75
	global_load_dword v82, v[68:69], off offset:1792
	v_lshrrev_b32_e32 v81, 16, v25
	s_waitcnt vmcnt(0)
	v_mul_f16_sdwa v86, v81, v82 dst_sel:DWORD dst_unused:UNUSED_PAD src0_sel:DWORD src1_sel:WORD_1
	v_fma_f16 v86, v25, v82, -v86
	v_mul_f16_sdwa v25, v25, v82 dst_sel:DWORD dst_unused:UNUSED_PAD src0_sel:DWORD src1_sel:WORD_1
	v_fma_f16 v25, v81, v82, v25
	v_add_co_u32_e32 v81, vcc, s6, v32
	v_addc_co_u32_e32 v82, vcc, 0, v90, vcc
	global_load_dword v91, v[81:82], off offset:448
	v_pack_b32_f16 v86, v86, v25
	v_lshrrev_b32_e32 v25, 16, v27
	s_mov_b32 s6, 0x11000
	s_waitcnt vmcnt(0)
	v_mul_f16_sdwa v92, v25, v91 dst_sel:DWORD dst_unused:UNUSED_PAD src0_sel:DWORD src1_sel:WORD_1
	v_fma_f16 v92, v27, v91, -v92
	v_mul_f16_sdwa v27, v27, v91 dst_sel:DWORD dst_unused:UNUSED_PAD src0_sel:DWORD src1_sel:WORD_1
	v_fma_f16 v25, v25, v91, v27
	v_pack_b32_f16 v25, v92, v25
	ds_write2st64_b32 v83, v24, v25 offset0:43 offset1:50
	global_load_dword v25, v[77:78], off offset:3456
	v_lshrrev_b32_e32 v24, 16, v76
	v_add_co_u32_e32 v77, vcc, s6, v32
	v_addc_co_u32_e32 v78, vcc, 0, v90, vcc
	s_mov_b32 s6, 0x14000
	s_waitcnt vmcnt(0)
	v_mul_f16_sdwa v27, v24, v25 dst_sel:DWORD dst_unused:UNUSED_PAD src0_sel:DWORD src1_sel:WORD_1
	v_fma_f16 v27, v76, v25, -v27
	v_mul_f16_sdwa v76, v76, v25 dst_sel:DWORD dst_unused:UNUSED_PAD src0_sel:DWORD src1_sel:WORD_1
	v_fma_f16 v24, v24, v25, v76
	global_load_dword v25, v[88:89], off offset:2368
	v_pack_b32_f16 v24, v27, v24
	ds_write2st64_b32 v84, v26, v24 offset0:87 offset1:94
	v_lshrrev_b32_e32 v24, 16, v87
	v_add_co_u32_e32 v88, vcc, s6, v32
	v_addc_co_u32_e32 v89, vcc, 0, v90, vcc
	global_load_dword v91, v[88:89], off offset:64
	s_mov_b32 s6, 0xc000
	s_waitcnt vmcnt(1)
	v_mul_f16_sdwa v27, v87, v25 dst_sel:DWORD dst_unused:UNUSED_PAD src0_sel:DWORD src1_sel:WORD_1
	v_mul_f16_sdwa v26, v24, v25 dst_sel:DWORD dst_unused:UNUSED_PAD src0_sel:DWORD src1_sel:WORD_1
	v_fma_f16 v24, v24, v25, v27
	global_load_dword v27, v[68:69], off offset:3584
	v_fma_f16 v26, v87, v25, -v26
	v_pack_b32_f16 v24, v26, v24
	ds_write2st64_b32 v85, v75, v24 offset0:131 offset1:138
	ds_read2st64_b32 v[24:25], v107 offset0:14 offset1:21
	s_waitcnt lgkmcnt(0)
	v_lshrrev_b32_e32 v26, 16, v24
	s_waitcnt vmcnt(0)
	v_mul_f16_sdwa v75, v26, v27 dst_sel:DWORD dst_unused:UNUSED_PAD src0_sel:DWORD src1_sel:WORD_1
	v_fma_f16 v75, v24, v27, -v75
	v_mul_f16_sdwa v24, v24, v27 dst_sel:DWORD dst_unused:UNUSED_PAD src0_sel:DWORD src1_sel:WORD_1
	v_fma_f16 v24, v26, v27, v24
	v_pack_b32_f16 v24, v75, v24
	global_load_dword v75, v[81:82], off offset:2240
	ds_write2st64_b32 v107, v86, v24 offset0:7 offset1:14
	global_load_dword v86, v[77:78], off offset:1152
	ds_read2st64_b32 v[26:27], v83 offset0:57 offset1:64
	global_load_dword v81, v[81:82], off offset:4032
	s_waitcnt lgkmcnt(0)
	v_lshrrev_b32_e32 v24, 16, v26
	s_waitcnt vmcnt(2)
	v_mul_f16_sdwa v76, v24, v75 dst_sel:DWORD dst_unused:UNUSED_PAD src0_sel:DWORD src1_sel:WORD_1
	v_fma_f16 v76, v26, v75, -v76
	v_mul_f16_sdwa v26, v26, v75 dst_sel:DWORD dst_unused:UNUSED_PAD src0_sel:DWORD src1_sel:WORD_1
	v_fma_f16 v24, v24, v75, v26
	v_pack_b32_f16 v24, v76, v24
	ds_read2st64_b32 v[75:76], v84 offset0:101 offset1:108
	s_waitcnt lgkmcnt(0)
	v_lshrrev_b32_e32 v26, 16, v75
	s_waitcnt vmcnt(1)
	v_mul_f16_sdwa v87, v26, v86 dst_sel:DWORD dst_unused:UNUSED_PAD src0_sel:DWORD src1_sel:WORD_1
	v_fma_f16 v87, v75, v86, -v87
	v_mul_f16_sdwa v75, v75, v86 dst_sel:DWORD dst_unused:UNUSED_PAD src0_sel:DWORD src1_sel:WORD_1
	v_fma_f16 v26, v26, v86, v75
	v_pack_b32_f16 v26, v87, v26
	ds_read2st64_b32 v[86:87], v85 offset0:145 offset1:152
	s_waitcnt lgkmcnt(0)
	v_lshrrev_b32_e32 v75, 16, v86
	v_mul_f16_sdwa v92, v75, v91 dst_sel:DWORD dst_unused:UNUSED_PAD src0_sel:DWORD src1_sel:WORD_1
	v_fma_f16 v92, v86, v91, -v92
	v_mul_f16_sdwa v86, v86, v91 dst_sel:DWORD dst_unused:UNUSED_PAD src0_sel:DWORD src1_sel:WORD_1
	v_fma_f16 v75, v75, v91, v86
	v_add_co_u32_e32 v91, vcc, s6, v32
	v_pack_b32_f16 v75, v92, v75
	v_addc_co_u32_e32 v92, vcc, 0, v90, vcc
	global_load_dword v93, v[91:92], off offset:1024
	v_lshrrev_b32_e32 v86, 16, v25
	s_mov_b32 s6, 0xf000
	s_waitcnt vmcnt(0)
	v_mul_f16_sdwa v94, v86, v93 dst_sel:DWORD dst_unused:UNUSED_PAD src0_sel:DWORD src1_sel:WORD_1
	v_fma_f16 v94, v25, v93, -v94
	v_mul_f16_sdwa v25, v25, v93 dst_sel:DWORD dst_unused:UNUSED_PAD src0_sel:DWORD src1_sel:WORD_1
	v_fma_f16 v25, v86, v93, v25
	v_pack_b32_f16 v86, v94, v25
	v_lshrrev_b32_e32 v25, 16, v27
	v_mul_f16_sdwa v82, v25, v81 dst_sel:DWORD dst_unused:UNUSED_PAD src0_sel:DWORD src1_sel:WORD_1
	v_fma_f16 v82, v27, v81, -v82
	v_mul_f16_sdwa v27, v27, v81 dst_sel:DWORD dst_unused:UNUSED_PAD src0_sel:DWORD src1_sel:WORD_1
	v_fma_f16 v25, v25, v81, v27
	v_pack_b32_f16 v25, v82, v25
	ds_write2st64_b32 v83, v24, v25 offset0:57 offset1:64
	global_load_dword v25, v[77:78], off offset:2944
	v_lshrrev_b32_e32 v24, 16, v76
	s_waitcnt vmcnt(0)
	v_mul_f16_sdwa v27, v24, v25 dst_sel:DWORD dst_unused:UNUSED_PAD src0_sel:DWORD src1_sel:WORD_1
	v_fma_f16 v27, v76, v25, -v27
	v_mul_f16_sdwa v76, v76, v25 dst_sel:DWORD dst_unused:UNUSED_PAD src0_sel:DWORD src1_sel:WORD_1
	v_fma_f16 v24, v24, v25, v76
	global_load_dword v25, v[88:89], off offset:1856
	v_pack_b32_f16 v24, v27, v24
	ds_write2st64_b32 v84, v26, v24 offset0:101 offset1:108
	v_lshrrev_b32_e32 v24, 16, v87
	global_load_dword v88, v[88:89], off offset:3648
	s_waitcnt vmcnt(1)
	v_mul_f16_sdwa v27, v87, v25 dst_sel:DWORD dst_unused:UNUSED_PAD src0_sel:DWORD src1_sel:WORD_1
	v_mul_f16_sdwa v26, v24, v25 dst_sel:DWORD dst_unused:UNUSED_PAD src0_sel:DWORD src1_sel:WORD_1
	v_fma_f16 v24, v24, v25, v27
	global_load_dword v27, v[91:92], off offset:2816
	v_fma_f16 v26, v87, v25, -v26
	v_pack_b32_f16 v24, v26, v24
	ds_write2st64_b32 v85, v75, v24 offset0:145 offset1:152
	ds_read2st64_b32 v[24:25], v107 offset0:28 offset1:35
	s_waitcnt lgkmcnt(0)
	v_lshrrev_b32_e32 v26, 16, v24
	s_waitcnt vmcnt(0)
	v_mul_f16_sdwa v75, v26, v27 dst_sel:DWORD dst_unused:UNUSED_PAD src0_sel:DWORD src1_sel:WORD_1
	v_fma_f16 v75, v24, v27, -v75
	v_mul_f16_sdwa v24, v24, v27 dst_sel:DWORD dst_unused:UNUSED_PAD src0_sel:DWORD src1_sel:WORD_1
	v_fma_f16 v24, v26, v27, v24
	v_pack_b32_f16 v24, v75, v24
	v_add_co_u32_e32 v75, vcc, s6, v32
	v_addc_co_u32_e32 v76, vcc, 0, v90, vcc
	global_load_dword v77, v[75:76], off offset:1728
	s_mov_b32 s6, 0x12000
	ds_write2st64_b32 v107, v86, v24 offset0:21 offset1:28
	v_add_co_u32_e32 v86, vcc, s6, v32
	v_addc_co_u32_e32 v87, vcc, 0, v90, vcc
	global_load_dword v81, v[86:87], off offset:640
	ds_read2st64_b32 v[26:27], v83 offset0:71 offset1:78
	s_waitcnt lgkmcnt(0)
	v_lshrrev_b32_e32 v24, 16, v26
	s_waitcnt vmcnt(1)
	v_mul_f16_sdwa v78, v24, v77 dst_sel:DWORD dst_unused:UNUSED_PAD src0_sel:DWORD src1_sel:WORD_1
	v_fma_f16 v78, v26, v77, -v78
	v_mul_f16_sdwa v26, v26, v77 dst_sel:DWORD dst_unused:UNUSED_PAD src0_sel:DWORD src1_sel:WORD_1
	v_fma_f16 v24, v24, v77, v26
	v_pack_b32_f16 v24, v78, v24
	ds_read2st64_b32 v[77:78], v84 offset0:115 offset1:122
	s_waitcnt lgkmcnt(0)
	v_lshrrev_b32_e32 v26, 16, v77
	s_waitcnt vmcnt(0)
	v_mul_f16_sdwa v82, v26, v81 dst_sel:DWORD dst_unused:UNUSED_PAD src0_sel:DWORD src1_sel:WORD_1
	v_fma_f16 v82, v77, v81, -v82
	v_mul_f16_sdwa v77, v77, v81 dst_sel:DWORD dst_unused:UNUSED_PAD src0_sel:DWORD src1_sel:WORD_1
	v_fma_f16 v26, v26, v81, v77
	v_pack_b32_f16 v26, v82, v26
	ds_read2st64_b32 v[81:82], v85 offset0:159 offset1:166
	s_waitcnt lgkmcnt(0)
	v_lshrrev_b32_e32 v77, 16, v81
	v_mul_f16_sdwa v89, v77, v88 dst_sel:DWORD dst_unused:UNUSED_PAD src0_sel:DWORD src1_sel:WORD_1
	v_fma_f16 v89, v81, v88, -v89
	v_mul_f16_sdwa v81, v81, v88 dst_sel:DWORD dst_unused:UNUSED_PAD src0_sel:DWORD src1_sel:WORD_1
	v_fma_f16 v77, v77, v88, v81
	v_pack_b32_f16 v81, v89, v77
	v_lshrrev_b32_e32 v77, 16, v25
	v_mul_f16_sdwa v71, v77, v70 dst_sel:DWORD dst_unused:UNUSED_PAD src0_sel:DWORD src1_sel:WORD_1
	v_fma_f16 v71, v25, v70, -v71
	v_mul_f16_sdwa v25, v25, v70 dst_sel:DWORD dst_unused:UNUSED_PAD src0_sel:DWORD src1_sel:WORD_1
	v_fma_f16 v25, v77, v70, v25
	global_load_dword v70, v[75:76], off offset:3520
	v_pack_b32_f16 v25, v71, v25
	ds_write_b32 v107, v25 offset:8960
	v_lshrrev_b32_e32 v25, 16, v27
	s_waitcnt vmcnt(0)
	v_mul_f16_sdwa v71, v25, v70 dst_sel:DWORD dst_unused:UNUSED_PAD src0_sel:DWORD src1_sel:WORD_1
	v_fma_f16 v71, v27, v70, -v71
	v_mul_f16_sdwa v27, v27, v70 dst_sel:DWORD dst_unused:UNUSED_PAD src0_sel:DWORD src1_sel:WORD_1
	v_fma_f16 v25, v25, v70, v27
	v_pack_b32_f16 v25, v71, v25
	ds_write2st64_b32 v83, v24, v25 offset0:71 offset1:78
	global_load_dword v25, v[86:87], off offset:2432
	v_lshrrev_b32_e32 v24, 16, v78
	s_waitcnt vmcnt(0)
	v_mul_f16_sdwa v27, v24, v25 dst_sel:DWORD dst_unused:UNUSED_PAD src0_sel:DWORD src1_sel:WORD_1
	v_mul_f16_sdwa v70, v78, v25 dst_sel:DWORD dst_unused:UNUSED_PAD src0_sel:DWORD src1_sel:WORD_1
	v_fma_f16 v27, v78, v25, -v27
	v_fma_f16 v24, v24, v25, v70
	v_pack_b32_f16 v24, v27, v24
	ds_write2st64_b32 v84, v26, v24 offset0:115 offset1:122
	v_add_co_u32_e32 v24, vcc, 0x15000, v32
	v_addc_co_u32_e32 v25, vcc, 0, v90, vcc
	global_load_dword v71, v[24:25], off offset:1344
	v_lshrrev_b32_e32 v70, 16, v82
	s_waitcnt vmcnt(0)
	v_mul_f16_sdwa v24, v70, v71 dst_sel:DWORD dst_unused:UNUSED_PAD src0_sel:DWORD src1_sel:WORD_1
	v_mul_f16_sdwa v25, v82, v71 dst_sel:DWORD dst_unused:UNUSED_PAD src0_sel:DWORD src1_sel:WORD_1
	v_fma_f16 v24, v82, v71, -v24
	v_fma_f16 v25, v70, v71, v25
	v_pack_b32_f16 v24, v24, v25
	ds_write2st64_b32 v85, v81, v24 offset0:159 offset1:166
	s_and_saveexec_b64 s[6:7], s[0:1]
	s_cbranch_execz .LBB0_17
; %bb.16:
	v_add_co_u32_e32 v24, vcc, 0x2000, v68
	v_addc_co_u32_e32 v25, vcc, 0, v69, vcc
	global_load_dword v24, v[24:25], off offset:2560
	ds_read_b32 v26, v107 offset:10752
	s_waitcnt lgkmcnt(0)
	v_lshrrev_b32_e32 v27, 16, v26
	s_waitcnt vmcnt(0)
	v_mul_f16_sdwa v25, v27, v24 dst_sel:DWORD dst_unused:UNUSED_PAD src0_sel:DWORD src1_sel:WORD_1
	v_fma_f16 v25, v26, v24, -v25
	v_mul_f16_sdwa v26, v26, v24 dst_sel:DWORD dst_unused:UNUSED_PAD src0_sel:DWORD src1_sel:WORD_1
	v_fma_f16 v24, v27, v24, v26
	v_pack_b32_f16 v24, v25, v24
	ds_write_b32 v107, v24 offset:10752
	v_add_co_u32_e32 v24, vcc, 0x5000, v68
	v_addc_co_u32_e32 v25, vcc, 0, v69, vcc
	global_load_dword v24, v[24:25], off offset:1472
	ds_read_b32 v26, v107 offset:21952
	s_waitcnt lgkmcnt(0)
	v_lshrrev_b32_e32 v27, 16, v26
	s_waitcnt vmcnt(0)
	v_mul_f16_sdwa v25, v27, v24 dst_sel:DWORD dst_unused:UNUSED_PAD src0_sel:DWORD src1_sel:WORD_1
	v_fma_f16 v25, v26, v24, -v25
	v_mul_f16_sdwa v26, v26, v24 dst_sel:DWORD dst_unused:UNUSED_PAD src0_sel:DWORD src1_sel:WORD_1
	v_fma_f16 v24, v27, v24, v26
	v_pack_b32_f16 v24, v25, v24
	ds_write_b32 v107, v24 offset:21952
	;; [unrolled: 13-line block ×4, first 2 shown]
.LBB0_17:
	s_or_b64 exec, exec, s[6:7]
	s_waitcnt lgkmcnt(0)
	s_barrier
	ds_read2st64_b32 v[93:94], v107 offset1:7
	ds_read2st64_b32 v[95:96], v83 offset0:43 offset1:50
	ds_read2st64_b32 v[99:100], v84 offset0:87 offset1:94
	ds_read2st64_b32 v[101:102], v85 offset0:131 offset1:138
	ds_read2st64_b32 v[89:90], v107 offset0:14 offset1:21
	ds_read2st64_b32 v[91:92], v83 offset0:57 offset1:64
	ds_read2st64_b32 v[86:87], v84 offset0:101 offset1:108
	ds_read2st64_b32 v[97:98], v85 offset0:145 offset1:152
	ds_read2st64_b32 v[68:69], v107 offset0:28 offset1:35
	ds_read2st64_b32 v[82:83], v83 offset0:71 offset1:78
	ds_read2st64_b32 v[70:71], v84 offset0:115 offset1:122
	ds_read2st64_b32 v[84:85], v85 offset0:159 offset1:166
	buffer_load_dword v24, off, s[24:27], 0 offset:8 ; 4-byte Folded Reload
	s_waitcnt vmcnt(0)
	v_add_u32_e32 v24, 0x8c00, v24
	s_and_saveexec_b64 s[6:7], s[0:1]
	s_cbranch_execz .LBB0_19
; %bb.18:
	ds_read_b32 v105, v107 offset:10752
	ds_read_b32 v25, v107 offset:21952
	;; [unrolled: 1-line block ×4, first 2 shown]
	s_waitcnt lgkmcnt(3)
	v_lshrrev_b32_e32 v108, 16, v105
	s_waitcnt lgkmcnt(2)
	buffer_store_dword v25, off, s[24:27], 0 offset:16 ; 4-byte Folded Spill
	v_lshrrev_b32_e32 v25, 16, v25
	buffer_store_dword v25, off, s[24:27], 0 offset:20 ; 4-byte Folded Spill
	s_waitcnt lgkmcnt(1)
	buffer_store_dword v26, off, s[24:27], 0 offset:24 ; 4-byte Folded Spill
	v_lshrrev_b32_e32 v25, 16, v26
	buffer_store_dword v25, off, s[24:27], 0 offset:32 ; 4-byte Folded Spill
	s_waitcnt lgkmcnt(0)
	buffer_store_dword v27, off, s[24:27], 0 offset:28 ; 4-byte Folded Spill
	v_lshrrev_b32_e32 v25, 16, v27
	buffer_store_dword v25, off, s[24:27], 0 offset:36 ; 4-byte Folded Spill
.LBB0_19:
	s_or_b64 exec, exec, s[6:7]
	s_waitcnt lgkmcnt(9)
	v_pk_add_f16 v25, v93, v99 neg_lo:[0,1] neg_hi:[0,1]
	s_waitcnt lgkmcnt(8)
	v_pk_add_f16 v26, v95, v101 neg_lo:[0,1] neg_hi:[0,1]
	v_lshrrev_b32_e32 v75, 16, v25
	v_sub_f16_e32 v77, v75, v26
	v_pk_add_f16 v110, v94, v100 neg_lo:[0,1] neg_hi:[0,1]
	v_fma_f16 v104, v75, 2.0, -v77
	v_pk_add_f16 v102, v96, v102 neg_lo:[0,1] neg_hi:[0,1]
	v_lshrrev_b32_e32 v75, 16, v110
	v_sub_f16_e32 v112, v75, v102
	s_waitcnt lgkmcnt(5)
	v_pk_add_f16 v115, v89, v86 neg_lo:[0,1] neg_hi:[0,1]
	v_fma_f16 v114, v75, 2.0, -v112
	s_waitcnt lgkmcnt(4)
	v_pk_add_f16 v116, v91, v97 neg_lo:[0,1] neg_hi:[0,1]
	v_lshrrev_b32_e32 v75, 16, v115
	v_sub_f16_e32 v118, v75, v116
	v_pk_add_f16 v122, v90, v87 neg_lo:[0,1] neg_hi:[0,1]
	v_fma_f16 v121, v75, 2.0, -v118
	v_pk_add_f16 v123, v92, v98 neg_lo:[0,1] neg_hi:[0,1]
	v_lshrrev_b32_e32 v75, 16, v122
	s_waitcnt lgkmcnt(1)
	v_pk_add_f16 v120, v68, v70 neg_lo:[0,1] neg_hi:[0,1]
	v_sub_f16_e32 v125, v75, v123
	s_waitcnt lgkmcnt(0)
	v_pk_add_f16 v84, v82, v84 neg_lo:[0,1] neg_hi:[0,1]
	v_lshrrev_b32_e32 v70, 16, v120
	v_pk_add_f16 v35, v69, v71 neg_lo:[0,1] neg_hi:[0,1]
	v_pk_add_f16 v71, v83, v85 neg_lo:[0,1] neg_hi:[0,1]
	v_fma_f16 v127, v75, 2.0, -v125
	v_sub_f16_e32 v32, v70, v84
	v_add_f16_sdwa v85, v35, v71 dst_sel:DWORD dst_unused:UNUSED_PAD src0_sel:DWORD src1_sel:WORD_1
	v_lshrrev_b32_e32 v75, 16, v35
	v_fma_f16 v34, v70, 2.0, -v32
	v_pk_fma_f16 v69, v69, 2.0, v35 op_sel_hi:[1,0,1] neg_lo:[0,0,1] neg_hi:[0,0,1]
	v_pk_fma_f16 v70, v83, 2.0, v71 op_sel_hi:[1,0,1] neg_lo:[0,0,1] neg_hi:[0,0,1]
	v_sub_f16_e32 v106, v75, v71
	v_fma_f16 v81, v35, 2.0, -v85
	buffer_load_dword v35, off, s[24:27], 0 offset:24 ; 4-byte Folded Reload
	buffer_load_dword v71, off, s[24:27], 0 offset:32 ; 4-byte Folded Reload
	;; [unrolled: 1-line block ×6, first 2 shown]
	v_add_f16_sdwa v27, v25, v26 dst_sel:DWORD dst_unused:UNUSED_PAD src0_sel:DWORD src1_sel:WORD_1
	v_fma_f16 v101, v25, 2.0, -v27
	v_pk_fma_f16 v25, v93, 2.0, v25 op_sel_hi:[1,0,1] neg_lo:[0,0,1] neg_hi:[0,0,1]
	v_pk_fma_f16 v26, v95, 2.0, v26 op_sel_hi:[1,0,1] neg_lo:[0,0,1] neg_hi:[0,0,1]
	v_pk_add_f16 v99, v25, v26 neg_lo:[0,1] neg_hi:[0,1]
	s_waitcnt vmcnt(0)
	s_barrier
	v_pack_b32_f16 v100, v27, v77
	v_pack_b32_f16 v98, v101, v104
	v_pk_fma_f16 v26, v96, 2.0, v102 op_sel_hi:[1,0,1] neg_lo:[0,0,1] neg_hi:[0,0,1]
	v_add_f16_sdwa v111, v110, v102 dst_sel:DWORD dst_unused:UNUSED_PAD src0_sel:DWORD src1_sel:WORD_1
	v_fma_f16 v113, v110, 2.0, -v111
	v_pack_b32_f16 v96, v111, v112
	v_add_f16_sdwa v117, v115, v116 dst_sel:DWORD dst_unused:UNUSED_PAD src0_sel:DWORD src1_sel:WORD_1
	v_fma_f16 v119, v115, 2.0, -v117
	v_add_f16_sdwa v124, v122, v123 dst_sel:DWORD dst_unused:UNUSED_PAD src0_sel:DWORD src1_sel:WORD_1
	v_fma_f16 v126, v122, 2.0, -v124
	;; [unrolled: 2-line block ×3, first 2 shown]
	v_fma_f16 v33, v120, 2.0, -v103
	v_pk_add_f16 v70, v69, v70 neg_lo:[0,1] neg_hi:[0,1]
	v_sub_f16_e32 v35, v105, v35
	v_sub_f16_e32 v71, v108, v71
	v_fma_f16 v76, v108, 2.0, -v71
	v_sub_f16_e32 v87, v88, v87
	v_fma_f16 v97, v88, 2.0, -v87
	v_sub_f16_e32 v108, v76, v97
	v_pk_fma_f16 v97, v25, 2.0, v99 op_sel_hi:[1,0,1] neg_lo:[0,0,1] neg_hi:[0,0,1]
	buffer_load_dword v25, off, s[24:27], 0 offset:8 ; 4-byte Folded Reload
	v_sub_f16_e32 v83, v86, v83
	v_fma_f16 v75, v105, 2.0, -v35
	v_fma_f16 v86, v86, 2.0, -v83
	v_sub_f16_e32 v88, v75, v86
	v_add_f16_e32 v105, v87, v35
	v_sub_f16_e32 v109, v71, v83
	v_fma_f16 v86, v75, 2.0, -v88
	v_fma_f16 v75, v76, 2.0, -v108
	;; [unrolled: 1-line block ×4, first 2 shown]
	v_pack_b32_f16 v71, v85, v106
	s_waitcnt vmcnt(0)
	ds_write_b128 v25, v[97:100]
	v_pk_fma_f16 v25, v94, 2.0, v110 op_sel_hi:[1,0,1] neg_lo:[0,0,1] neg_hi:[0,0,1]
	v_pk_add_f16 v95, v25, v26 neg_lo:[0,1] neg_hi:[0,1]
	v_pk_fma_f16 v93, v25, 2.0, v95 op_sel_hi:[1,0,1] neg_lo:[0,0,1] neg_hi:[0,0,1]
	buffer_load_dword v25, off, s[24:27], 0 offset:180 ; 4-byte Folded Reload
	v_pack_b32_f16 v94, v113, v114
	v_pk_fma_f16 v26, v91, 2.0, v116 op_sel_hi:[1,0,1] neg_lo:[0,0,1] neg_hi:[0,0,1]
	s_waitcnt vmcnt(0)
	ds_write_b128 v25, v[93:96]
	v_pk_fma_f16 v25, v89, 2.0, v115 op_sel_hi:[1,0,1] neg_lo:[0,0,1] neg_hi:[0,0,1]
	v_pk_add_f16 v95, v25, v26 neg_lo:[0,1] neg_hi:[0,1]
	v_pk_fma_f16 v93, v25, 2.0, v95 op_sel_hi:[1,0,1] neg_lo:[0,0,1] neg_hi:[0,0,1]
	buffer_load_dword v25, off, s[24:27], 0 offset:184 ; 4-byte Folded Reload
	v_pack_b32_f16 v96, v117, v118
	v_pack_b32_f16 v94, v119, v121
	v_pk_fma_f16 v26, v92, 2.0, v123 op_sel_hi:[1,0,1] neg_lo:[0,0,1] neg_hi:[0,0,1]
	v_pack_b32_f16 v92, v124, v125
	s_waitcnt vmcnt(0)
	ds_write_b128 v25, v[93:96]
	v_pk_fma_f16 v25, v90, 2.0, v122 op_sel_hi:[1,0,1] neg_lo:[0,0,1] neg_hi:[0,0,1]
	v_pk_add_f16 v91, v25, v26 neg_lo:[0,1] neg_hi:[0,1]
	v_pk_fma_f16 v89, v25, 2.0, v91 op_sel_hi:[1,0,1] neg_lo:[0,0,1] neg_hi:[0,0,1]
	buffer_load_dword v25, off, s[24:27], 0 offset:188 ; 4-byte Folded Reload
	v_pack_b32_f16 v90, v126, v127
	v_pk_fma_f16 v26, v82, 2.0, v84 op_sel_hi:[1,0,1] neg_lo:[0,0,1] neg_hi:[0,0,1]
	s_waitcnt vmcnt(0)
	ds_write_b128 v25, v[89:92]
	v_pk_fma_f16 v25, v68, 2.0, v120 op_sel_hi:[1,0,1] neg_lo:[0,0,1] neg_hi:[0,0,1]
	v_pk_add_f16 v91, v25, v26 neg_lo:[0,1] neg_hi:[0,1]
	v_pk_fma_f16 v89, v25, 2.0, v91 op_sel_hi:[1,0,1] neg_lo:[0,0,1] neg_hi:[0,0,1]
	buffer_load_dword v25, off, s[24:27], 0 offset:12 ; 4-byte Folded Reload
	v_pack_b32_f16 v92, v103, v32
	v_pack_b32_f16 v90, v33, v34
	v_pk_fma_f16 v68, v69, 2.0, v70 op_sel_hi:[1,0,1] neg_lo:[0,0,1] neg_hi:[0,0,1]
	v_pack_b32_f16 v69, v81, v78
	s_waitcnt vmcnt(0)
	ds_write_b128 v25, v[89:92]
	ds_write_b128 v24, v[68:71]
	s_and_saveexec_b64 s[6:7], s[0:1]
	s_cbranch_execz .LBB0_21
; %bb.20:
	buffer_load_dword v32, off, s[24:27], 0 offset:176 ; 4-byte Folded Reload
	s_mov_b32 s14, 0x5040100
	v_perm_b32 v27, v109, v105, s14
	v_perm_b32 v26, v108, v88, s14
	;; [unrolled: 1-line block ×4, first 2 shown]
	s_waitcnt vmcnt(0)
	ds_write_b128 v32, v[24:27]
.LBB0_21:
	s_or_b64 exec, exec, s[6:7]
	s_waitcnt lgkmcnt(0)
	s_barrier
	ds_read2st64_b32 v[83:84], v107 offset1:7
	ds_read2st64_b32 v[68:69], v107 offset0:14 offset1:25
	ds_read2st64_b32 v[103:104], v107 offset0:50 offset1:57
	;; [unrolled: 1-line block ×9, first 2 shown]
	ds_read_b32 v24, v107 offset:41984
	s_and_saveexec_b64 s[6:7], s[2:3]
	s_cbranch_execz .LBB0_23
; %bb.22:
	ds_read2st64_b32 v[81:82], v107 offset0:21 offset1:46
	ds_read2st64_b32 v[85:86], v107 offset0:71 offset1:96
	;; [unrolled: 1-line block ×3, first 2 shown]
	ds_read_b32 v105, v107 offset:43776
	s_waitcnt lgkmcnt(3)
	v_lshrrev_b32_e32 v78, 16, v81
	s_waitcnt lgkmcnt(2)
	v_lshrrev_b32_e32 v106, 16, v85
	v_lshrrev_b32_e32 v75, 16, v86
	s_waitcnt lgkmcnt(1)
	v_lshrrev_b32_e32 v76, 16, v87
	;; [unrolled: 3-line block ×3, first 2 shown]
	v_mov_b32_e32 v70, v82
.LBB0_23:
	s_or_b64 exec, exec, s[6:7]
	s_waitcnt lgkmcnt(9)
	v_lshrrev_b32_e32 v25, 16, v69
	v_mul_f16_sdwa v118, v0, v25 dst_sel:DWORD dst_unused:UNUSED_PAD src0_sel:WORD_1 src1_sel:DWORD
	s_waitcnt lgkmcnt(8)
	v_lshrrev_b32_e32 v26, 16, v103
	v_fma_f16 v118, v0, v69, v118
	v_mul_f16_sdwa v69, v0, v69 dst_sel:DWORD dst_unused:UNUSED_PAD src0_sel:WORD_1 src1_sel:DWORD
	v_fma_f16 v25, v0, v25, -v69
	v_mul_f16_sdwa v69, v1, v26 dst_sel:DWORD dst_unused:UNUSED_PAD src0_sel:WORD_1 src1_sel:DWORD
	s_waitcnt lgkmcnt(7)
	v_lshrrev_b32_e32 v27, 16, v92
	v_fma_f16 v119, v1, v103, v69
	v_mul_f16_sdwa v69, v1, v103 dst_sel:DWORD dst_unused:UNUSED_PAD src0_sel:WORD_1 src1_sel:DWORD
	v_fma_f16 v26, v1, v26, -v69
	;; [unrolled: 6-line block ×6, first 2 shown]
	v_mul_f16_sdwa v69, v0, v35 dst_sel:DWORD dst_unused:UNUSED_PAD src0_sel:WORD_1 src1_sel:DWORD
	v_lshrrev_b32_e32 v71, 16, v104
	v_fma_f16 v99, v0, v97, v69
	v_mul_f16_sdwa v69, v0, v97 dst_sel:DWORD dst_unused:UNUSED_PAD src0_sel:WORD_1 src1_sel:DWORD
	v_fma_f16 v35, v0, v35, -v69
	v_mul_f16_sdwa v69, v1, v71 dst_sel:DWORD dst_unused:UNUSED_PAD src0_sel:WORD_1 src1_sel:DWORD
	s_waitcnt lgkmcnt(2)
	v_lshrrev_b32_e32 v77, 16, v95
	v_fma_f16 v97, v1, v104, v69
	v_mul_f16_sdwa v69, v1, v104 dst_sel:DWORD dst_unused:UNUSED_PAD src0_sel:WORD_1 src1_sel:DWORD
	v_fma_f16 v104, v1, v71, -v69
	v_mul_f16_sdwa v69, v2, v77 dst_sel:DWORD dst_unused:UNUSED_PAD src0_sel:WORD_1 src1_sel:DWORD
	v_lshrrev_b32_e32 v82, 16, v102
	v_fma_f16 v120, v2, v95, v69
	v_mul_f16_sdwa v69, v2, v95 dst_sel:DWORD dst_unused:UNUSED_PAD src0_sel:WORD_1 src1_sel:DWORD
	v_fma_f16 v95, v2, v77, -v69
	v_mul_f16_sdwa v69, v3, v82 dst_sel:DWORD dst_unused:UNUSED_PAD src0_sel:WORD_1 src1_sel:DWORD
	s_waitcnt lgkmcnt(1)
	v_lshrrev_b32_e32 v110, 16, v93
	v_fma_f16 v121, v3, v102, v69
	v_mul_f16_sdwa v69, v3, v102 dst_sel:DWORD dst_unused:UNUSED_PAD src0_sel:WORD_1 src1_sel:DWORD
	v_fma_f16 v102, v3, v82, -v69
	v_mul_f16_sdwa v69, v79, v110 dst_sel:DWORD dst_unused:UNUSED_PAD src0_sel:WORD_1 src1_sel:DWORD
	v_lshrrev_b32_e32 v111, 16, v100
	v_fma_f16 v122, v79, v93, v69
	v_mul_f16_sdwa v69, v79, v93 dst_sel:DWORD dst_unused:UNUSED_PAD src0_sel:WORD_1 src1_sel:DWORD
	v_fma_f16 v93, v79, v110, -v69
	v_mul_f16_sdwa v69, v80, v111 dst_sel:DWORD dst_unused:UNUSED_PAD src0_sel:WORD_1 src1_sel:DWORD
	;; [unrolled: 5-line block ×7, first 2 shown]
	s_waitcnt lgkmcnt(0)
	v_lshrrev_b32_e32 v117, 16, v24
	v_fma_f16 v115, v79, v94, v69
	v_mul_f16_sdwa v69, v79, v94 dst_sel:DWORD dst_unused:UNUSED_PAD src0_sel:WORD_1 src1_sel:DWORD
	v_fma_f16 v94, v79, v116, -v69
	v_mul_f16_sdwa v69, v80, v117 dst_sel:DWORD dst_unused:UNUSED_PAD src0_sel:WORD_1 src1_sel:DWORD
	v_lshrrev_b32_e32 v71, 16, v70
	v_fma_f16 v116, v80, v24, v69
	v_mul_f16_sdwa v69, v0, v71 dst_sel:DWORD dst_unused:UNUSED_PAD src0_sel:WORD_1 src1_sel:DWORD
	v_fma_f16 v69, v0, v70, v69
	v_mul_f16_sdwa v70, v0, v70 dst_sel:DWORD dst_unused:UNUSED_PAD src0_sel:WORD_1 src1_sel:DWORD
	v_fma_f16 v77, v0, v71, -v70
	v_mul_f16_sdwa v0, v1, v106 dst_sel:DWORD dst_unused:UNUSED_PAD src0_sel:WORD_1 src1_sel:DWORD
	v_fma_f16 v70, v1, v85, v0
	v_mul_f16_sdwa v0, v1, v85 dst_sel:DWORD dst_unused:UNUSED_PAD src0_sel:WORD_1 src1_sel:DWORD
	v_fma_f16 v82, v1, v106, -v0
	;; [unrolled: 4-line block ×5, first 2 shown]
	v_mul_f16_sdwa v0, v80, v109 dst_sel:DWORD dst_unused:UNUSED_PAD src0_sel:WORD_1 src1_sel:DWORD
	v_mul_f16_sdwa v24, v80, v24 dst_sel:DWORD dst_unused:UNUSED_PAD src0_sel:WORD_1 src1_sel:DWORD
	v_fma_f16 v85, v80, v105, v0
	v_mul_f16_sdwa v0, v80, v105 dst_sel:DWORD dst_unused:UNUSED_PAD src0_sel:WORD_1 src1_sel:DWORD
	v_fma_f16 v24, v80, v117, -v24
	v_fma_f16 v80, v80, v109, -v0
	v_add_f16_e32 v0, v118, v90
	v_add_f16_e32 v1, v25, v34
	v_sub_f16_e32 v25, v25, v34
	v_add_f16_e32 v34, v119, v101
	v_add_f16_e32 v87, v26, v33
	v_sub_f16_e32 v86, v118, v90
	v_sub_f16_e32 v88, v119, v101
	;; [unrolled: 1-line block ×3, first 2 shown]
	v_add_f16_e32 v33, v103, v92
	v_add_f16_e32 v90, v27, v32
	v_sub_f16_e32 v92, v92, v103
	v_sub_f16_e32 v27, v32, v27
	v_add_f16_e32 v32, v34, v0
	v_add_f16_e32 v101, v87, v1
	v_sub_f16_e32 v103, v34, v0
	v_sub_f16_e32 v105, v87, v1
	;; [unrolled: 1-line block ×6, first 2 shown]
	v_add_f16_e32 v0, v92, v88
	v_add_f16_e32 v1, v27, v26
	v_sub_f16_e32 v109, v92, v88
	v_sub_f16_e32 v117, v27, v26
	;; [unrolled: 1-line block ×4, first 2 shown]
	v_add_f16_e32 v32, v33, v32
	v_add_f16_e32 v33, v90, v101
	v_sub_f16_e32 v92, v86, v92
	v_sub_f16_e32 v27, v25, v27
	v_add_f16_e32 v86, v0, v86
	v_add_f16_e32 v25, v1, v25
	;; [unrolled: 1-line block ×3, first 2 shown]
	v_add_f16_sdwa v1, v83, v33 dst_sel:DWORD dst_unused:UNUSED_PAD src0_sel:WORD_1 src1_sel:DWORD
	v_mul_f16_e32 v83, 0x3a52, v106
	v_mul_f16_e32 v90, 0x3a52, v108
	s_movk_i32 s7, 0x2b26
	v_mul_f16_e32 v101, 0x2b26, v34
	v_mul_f16_e32 v106, 0x2b26, v87
	;; [unrolled: 1-line block ×4, first 2 shown]
	s_mov_b32 s6, 0xbb00
	v_mul_f16_e32 v117, 0xbb00, v88
	v_mul_f16_e32 v118, 0xbb00, v26
	s_mov_b32 s14, 0xbcab
	s_movk_i32 s15, 0x39e0
	s_mov_b32 s17, 0xb9e0
	s_mov_b32 s18, 0xb574
	s_movk_i32 s19, 0x3574
	v_fma_f16 v32, v32, s14, v0
	v_fma_f16 v33, v33, s14, v1
	;; [unrolled: 1-line block ×4, first 2 shown]
	v_fma_f16 v101, v103, s15, -v101
	v_fma_f16 v106, v105, s15, -v106
	;; [unrolled: 1-line block ×4, first 2 shown]
	v_fma_f16 v103, v92, s18, v108
	v_fma_f16 v105, v27, s18, v109
	v_fma_f16 v88, v88, s6, -v108
	v_fma_f16 v26, v26, s6, -v109
	;; [unrolled: 1-line block ×4, first 2 shown]
	s_mov_b32 s16, 0xb70e
	v_add_f16_e32 v34, v34, v32
	v_add_f16_e32 v87, v87, v33
	;; [unrolled: 1-line block ×6, first 2 shown]
	v_fma_f16 v83, v86, s16, v103
	v_fma_f16 v90, v25, s16, v105
	;; [unrolled: 1-line block ×6, first 2 shown]
	v_sub_f16_e32 v103, v87, v83
	v_add_f16_e32 v105, v25, v32
	v_sub_f16_e32 v108, v33, v86
	v_sub_f16_e32 v109, v101, v26
	v_add_f16_e32 v101, v26, v101
	v_sub_f16_e32 v32, v32, v25
	v_add_f16_e32 v33, v86, v33
	v_add_f16_e32 v86, v83, v87
	;; [unrolled: 1-line block ×7, first 2 shown]
	v_sub_f16_e32 v34, v34, v90
	v_sub_f16_e32 v27, v99, v110
	;; [unrolled: 1-line block ×5, first 2 shown]
	v_add_f16_e32 v97, v120, v121
	v_add_f16_e32 v99, v95, v102
	v_sub_f16_e32 v100, v121, v120
	v_sub_f16_e32 v95, v102, v95
	v_add_f16_e32 v102, v83, v25
	v_add_f16_e32 v104, v87, v26
	;; [unrolled: 1-line block ×3, first 2 shown]
	v_sub_f16_e32 v88, v106, v88
	v_sub_f16_e32 v106, v83, v25
	;; [unrolled: 1-line block ×7, first 2 shown]
	v_add_f16_e32 v118, v100, v90
	v_add_f16_e32 v119, v95, v93
	v_sub_f16_e32 v120, v100, v90
	v_sub_f16_e32 v121, v95, v93
	;; [unrolled: 1-line block ×4, first 2 shown]
	v_add_f16_e32 v97, v97, v102
	v_add_f16_e32 v99, v99, v104
	v_sub_f16_e32 v100, v27, v100
	v_sub_f16_e32 v95, v35, v95
	v_add_f16_e32 v27, v118, v27
	v_add_f16_e32 v35, v119, v35
	;; [unrolled: 1-line block ×3, first 2 shown]
	v_add_f16_sdwa v104, v84, v99 dst_sel:DWORD dst_unused:UNUSED_PAD src0_sel:WORD_1 src1_sel:DWORD
	v_mul_f16_e32 v25, 0x3a52, v25
	v_mul_f16_e32 v26, 0x3a52, v26
	;; [unrolled: 1-line block ×8, first 2 shown]
	v_fma_f16 v97, v97, s14, v102
	v_fma_f16 v99, v99, s14, v104
	;; [unrolled: 1-line block ×4, first 2 shown]
	v_fma_f16 v84, v106, s15, -v84
	v_fma_f16 v118, v110, s15, -v118
	;; [unrolled: 1-line block ×4, first 2 shown]
	v_fma_f16 v106, v100, s18, v119
	v_fma_f16 v110, v95, s18, v120
	v_fma_f16 v90, v90, s6, -v119
	v_fma_f16 v93, v93, s6, -v120
	;; [unrolled: 1-line block ×4, first 2 shown]
	v_add_f16_e32 v83, v83, v97
	v_add_f16_e32 v87, v87, v99
	;; [unrolled: 1-line block ×6, first 2 shown]
	v_fma_f16 v97, v27, s16, v106
	v_fma_f16 v99, v35, s16, v110
	;; [unrolled: 1-line block ×6, first 2 shown]
	v_add_f16_e32 v95, v99, v83
	v_add_f16_e32 v106, v35, v25
	v_sub_f16_e32 v110, v26, v27
	v_sub_f16_e32 v119, v84, v93
	v_add_f16_e32 v120, v90, v118
	v_add_f16_e32 v93, v93, v84
	v_sub_f16_e32 v90, v118, v90
	v_sub_f16_e32 v35, v25, v35
	v_add_f16_e32 v118, v27, v26
	v_sub_f16_e32 v99, v83, v99
	v_add_f16_e32 v25, v111, v116
	v_add_f16_e32 v26, v98, v24
	;; [unrolled: 1-line block ×4, first 2 shown]
	v_sub_f16_e32 v100, v87, v97
	v_add_f16_e32 v87, v97, v87
	v_sub_f16_e32 v27, v111, v116
	v_sub_f16_e32 v24, v98, v24
	;; [unrolled: 1-line block ×4, first 2 shown]
	v_add_f16_e32 v94, v113, v114
	v_add_f16_e32 v98, v96, v89
	v_sub_f16_e32 v111, v114, v113
	v_sub_f16_e32 v89, v89, v96
	v_add_f16_e32 v96, v83, v25
	v_add_f16_e32 v112, v84, v26
	v_sub_f16_e32 v113, v83, v25
	v_sub_f16_e32 v114, v84, v26
	;; [unrolled: 1-line block ×6, first 2 shown]
	v_add_f16_e32 v115, v111, v97
	v_add_f16_e32 v116, v89, v91
	v_sub_f16_e32 v121, v111, v97
	v_sub_f16_e32 v122, v89, v91
	;; [unrolled: 1-line block ×4, first 2 shown]
	v_add_f16_e32 v94, v94, v96
	v_add_f16_e32 v96, v98, v112
	v_sub_f16_e32 v111, v27, v111
	v_sub_f16_e32 v89, v24, v89
	v_add_f16_e32 v27, v115, v27
	v_add_f16_e32 v24, v116, v24
	;; [unrolled: 1-line block ×3, first 2 shown]
	v_add_f16_sdwa v112, v68, v96 dst_sel:DWORD dst_unused:UNUSED_PAD src0_sel:WORD_1 src1_sel:DWORD
	v_mul_f16_e32 v25, 0x3a52, v25
	v_mul_f16_e32 v26, 0x3a52, v26
	;; [unrolled: 1-line block ×8, first 2 shown]
	v_fma_f16 v94, v94, s14, v98
	v_fma_f16 v96, v96, s14, v112
	;; [unrolled: 1-line block ×4, first 2 shown]
	v_fma_f16 v68, v113, s15, -v68
	v_fma_f16 v115, v114, s15, -v115
	;; [unrolled: 1-line block ×4, first 2 shown]
	v_fma_f16 v113, v111, s18, v116
	v_fma_f16 v114, v89, s18, v121
	v_fma_f16 v97, v97, s6, -v116
	v_fma_f16 v91, v91, s6, -v121
	;; [unrolled: 1-line block ×4, first 2 shown]
	v_add_f16_e32 v83, v83, v94
	v_add_f16_e32 v84, v84, v96
	;; [unrolled: 1-line block ×6, first 2 shown]
	v_fma_f16 v94, v27, s16, v113
	v_fma_f16 v96, v24, s16, v114
	;; [unrolled: 1-line block ×6, first 2 shown]
	v_add_f16_e32 v113, v24, v25
	v_sub_f16_e32 v114, v26, v27
	v_sub_f16_e32 v116, v68, v91
	v_add_f16_e32 v121, v97, v115
	v_add_f16_e32 v91, v91, v68
	v_sub_f16_e32 v97, v115, v97
	v_sub_f16_e32 v115, v25, v24
	v_add_f16_e32 v122, v27, v26
	v_add_f16_e32 v24, v85, v69
	;; [unrolled: 1-line block ×3, first 2 shown]
	v_sub_f16_e32 v26, v69, v85
	v_add_f16_e32 v68, v76, v70
	v_add_f16_e32 v69, v79, v82
	v_sub_f16_e32 v27, v77, v80
	v_sub_f16_e32 v70, v70, v76
	;; [unrolled: 1-line block ×3, first 2 shown]
	v_add_f16_e32 v77, v75, v71
	v_add_f16_e32 v79, v3, v2
	v_sub_f16_e32 v71, v75, v71
	v_sub_f16_e32 v2, v3, v2
	v_add_f16_e32 v3, v68, v24
	v_add_f16_e32 v75, v69, v25
	v_sub_f16_e32 v111, v84, v94
	v_add_f16_e32 v94, v94, v84
	v_sub_f16_e32 v80, v68, v24
	v_sub_f16_e32 v82, v69, v25
	;; [unrolled: 1-line block ×6, first 2 shown]
	v_add_f16_e32 v84, v2, v76
	v_sub_f16_e32 v85, v71, v70
	v_sub_f16_e32 v123, v2, v76
	;; [unrolled: 1-line block ×3, first 2 shown]
	v_add_f16_e32 v77, v77, v3
	v_add_f16_e32 v75, v79, v75
	v_sub_f16_e32 v124, v27, v2
	v_add_f16_e32 v84, v84, v27
	v_add_f16_e32 v2, v81, v77
	;; [unrolled: 1-line block ×3, first 2 shown]
	v_mul_f16_e32 v25, 0x3a52, v25
	v_mul_f16_e32 v27, 0x2b26, v69
	;; [unrolled: 1-line block ×5, first 2 shown]
	v_add_f16_e32 v89, v96, v83
	v_sub_f16_e32 v96, v83, v96
	v_add_f16_e32 v83, v71, v70
	v_sub_f16_e32 v71, v26, v71
	v_sub_f16_e32 v70, v70, v26
	v_fma_f16 v75, v75, s14, v3
	v_fma_f16 v27, v82, s15, -v27
	v_fma_f16 v82, v82, s17, -v25
	v_fma_f16 v126, v124, s18, v81
	v_fma_f16 v127, v76, s6, -v81
	v_fma_f16 v85, v124, s19, -v85
	v_add_f16_e32 v79, v83, v26
	v_mul_f16_e32 v83, 0xbb00, v70
	v_fma_f16 v125, v71, s18, v78
	v_fma_f16 v70, v70, s6, -v78
	v_add_f16_e32 v78, v82, v75
	v_fma_f16 v76, v84, s16, v126
	v_fma_f16 v82, v84, s16, v127
	v_fma_f16 v84, v84, s16, v85
	s_barrier
	buffer_load_dword v85, off, s[24:27], 0 offset:192 ; 4-byte Folded Reload
	v_pack_b32_f16 v0, v0, v1
	v_pack_b32_f16 v1, v92, v103
	v_mul_f16_e32 v24, 0x3a52, v24
	v_mul_f16_e32 v26, 0x2b26, v68
	v_fma_f16 v123, v77, s14, v2
	v_fma_f16 v68, v68, s7, v24
	;; [unrolled: 1-line block ×3, first 2 shown]
	v_fma_f16 v26, v80, s15, -v26
	v_fma_f16 v80, v80, s17, -v24
	;; [unrolled: 1-line block ×3, first 2 shown]
	v_add_f16_e32 v24, v68, v123
	v_add_f16_e32 v25, v69, v75
	;; [unrolled: 1-line block ×5, first 2 shown]
	v_fma_f16 v75, v79, s16, v125
	v_fma_f16 v81, v79, s16, v70
	;; [unrolled: 1-line block ×3, first 2 shown]
	v_add_f16_e32 v68, v82, v26
	v_sub_f16_e32 v69, v77, v81
	v_sub_f16_e32 v79, v27, v84
	v_add_f16_e32 v80, v83, v78
	v_sub_f16_e32 v70, v24, v76
	v_add_f16_e32 v71, v75, v25
	s_waitcnt vmcnt(0)
	ds_write2_b32 v85, v0, v1 offset1:4
	v_pack_b32_f16 v0, v105, v108
	v_pack_b32_f16 v1, v109, v117
	ds_write2_b32 v85, v0, v1 offset0:8 offset1:12
	v_pack_b32_f16 v1, v32, v33
	buffer_load_dword v32, off, s[24:27], 0 offset:196 ; 4-byte Folded Reload
	v_pack_b32_f16 v0, v101, v88
	ds_write2_b32 v85, v0, v1 offset0:16 offset1:20
	v_pack_b32_f16 v0, v34, v86
	ds_write_b32 v85, v0 offset:96
	v_pack_b32_f16 v0, v102, v104
	v_pack_b32_f16 v1, v95, v100
	s_waitcnt vmcnt(0)
	ds_write2_b32 v32, v0, v1 offset1:4
	v_pack_b32_f16 v0, v106, v110
	v_pack_b32_f16 v1, v119, v120
	ds_write2_b32 v32, v0, v1 offset0:8 offset1:12
	v_pack_b32_f16 v0, v93, v90
	v_pack_b32_f16 v1, v35, v118
	ds_write2_b32 v32, v0, v1 offset0:16 offset1:20
	v_pack_b32_f16 v0, v99, v87
	ds_write_b32 v32, v0 offset:96
	buffer_load_dword v32, off, s[24:27], 0 offset:200 ; 4-byte Folded Reload
	v_pack_b32_f16 v0, v98, v112
	v_pack_b32_f16 v1, v89, v111
	s_waitcnt vmcnt(0)
	ds_write2_b32 v32, v0, v1 offset1:4
	v_pack_b32_f16 v0, v113, v114
	v_pack_b32_f16 v1, v116, v121
	ds_write2_b32 v32, v0, v1 offset0:8 offset1:12
	v_pack_b32_f16 v0, v91, v97
	v_pack_b32_f16 v1, v115, v122
	ds_write2_b32 v32, v0, v1 offset0:16 offset1:20
	v_pack_b32_f16 v0, v96, v94
	ds_write_b32 v32, v0 offset:96
	s_and_saveexec_b64 s[6:7], s[2:3]
	s_cbranch_execz .LBB0_25
; %bb.24:
	buffer_load_dword v32, off, s[24:27], 0 offset:256 ; 4-byte Folded Reload
	buffer_load_dword v33, off, s[24:27], 0 offset:172 ; 4-byte Folded Reload
	v_sub_f16_e32 v25, v25, v75
	v_add_f16_e32 v24, v76, v24
	s_mov_b32 s2, 0x5040100
	v_add_f16_e32 v0, v81, v77
	v_sub_f16_e32 v1, v26, v82
	v_sub_f16_e32 v26, v78, v83
	v_add_f16_e32 v27, v84, v27
	v_perm_b32 v2, v3, v2, s2
	v_pack_b32_f16 v3, v24, v25
	v_pack_b32_f16 v0, v1, v0
	v_perm_b32 v1, v80, v79, s2
	s_waitcnt vmcnt(1)
	v_mul_u32_u24_e32 v32, 28, v32
	s_waitcnt vmcnt(0)
	v_or_b32_e32 v32, v32, v33
	v_lshlrev_b32_e32 v32, 2, v32
	ds_write2_b32 v32, v2, v3 offset1:4
	v_pack_b32_f16 v2, v27, v26
	ds_write2_b32 v32, v2, v0 offset0:8 offset1:12
	v_perm_b32 v0, v69, v68, s2
	ds_write2_b32 v32, v0, v1 offset0:16 offset1:20
	v_perm_b32 v0, v71, v70, s2
	ds_write_b32 v32, v0 offset:96
.LBB0_25:
	s_or_b64 exec, exec, s[6:7]
	s_waitcnt lgkmcnt(0)
	s_barrier
	ds_read2st64_b32 v[24:25], v107 offset1:7
	ds_read2st64_b32 v[0:1], v107 offset0:28 offset1:35
	ds_read2st64_b32 v[26:27], v107 offset0:70 offset1:77
	;; [unrolled: 1-line block ×6, first 2 shown]
	s_waitcnt lgkmcnt(5)
	v_lshrrev_b32_e32 v33, 16, v1
	v_mul_f16_sdwa v116, v4, v33 dst_sel:DWORD dst_unused:UNUSED_PAD src0_sel:WORD_1 src1_sel:DWORD
	s_waitcnt lgkmcnt(4)
	v_lshrrev_b32_e32 v34, 16, v26
	v_fma_f16 v116, v4, v1, v116
	v_mul_f16_sdwa v1, v4, v1 dst_sel:DWORD dst_unused:UNUSED_PAD src0_sel:WORD_1 src1_sel:DWORD
	v_fma_f16 v1, v4, v33, -v1
	v_mul_f16_sdwa v4, v5, v34 dst_sel:DWORD dst_unused:UNUSED_PAD src0_sel:WORD_1 src1_sel:DWORD
	s_waitcnt lgkmcnt(3)
	v_lshrrev_b32_e32 v35, 16, v76
	v_fma_f16 v4, v5, v26, v4
	v_mul_f16_sdwa v26, v5, v26 dst_sel:DWORD dst_unused:UNUSED_PAD src0_sel:WORD_1 src1_sel:DWORD
	s_waitcnt lgkmcnt(2)
	v_lshrrev_b32_e32 v77, 16, v83
	v_fma_f16 v5, v5, v34, -v26
	v_mul_f16_sdwa v26, v6, v35 dst_sel:DWORD dst_unused:UNUSED_PAD src0_sel:WORD_1 src1_sel:DWORD
	v_mul_f16_sdwa v33, v6, v76 dst_sel:DWORD dst_unused:UNUSED_PAD src0_sel:WORD_1 src1_sel:DWORD
	s_waitcnt lgkmcnt(1)
	v_lshrrev_b32_e32 v98, 16, v85
	v_fma_f16 v26, v6, v76, v26
	v_fma_f16 v6, v6, v35, -v33
	v_mul_f16_sdwa v33, v7, v77 dst_sel:DWORD dst_unused:UNUSED_PAD src0_sel:WORD_1 src1_sel:DWORD
	v_mul_f16_sdwa v34, v7, v83 dst_sel:DWORD dst_unused:UNUSED_PAD src0_sel:WORD_1 src1_sel:DWORD
	v_lshrrev_b32_e32 v99, 16, v27
	v_fma_f16 v33, v7, v83, v33
	v_fma_f16 v7, v7, v77, -v34
	v_mul_f16_sdwa v34, v8, v98 dst_sel:DWORD dst_unused:UNUSED_PAD src0_sel:WORD_1 src1_sel:DWORD
	v_mul_f16_sdwa v35, v8, v85 dst_sel:DWORD dst_unused:UNUSED_PAD src0_sel:WORD_1 src1_sel:DWORD
	v_fma_f16 v34, v8, v85, v34
	v_fma_f16 v8, v8, v98, -v35
	v_mul_f16_sdwa v35, v9, v99 dst_sel:DWORD dst_unused:UNUSED_PAD src0_sel:WORD_1 src1_sel:DWORD
	s_waitcnt lgkmcnt(0)
	v_lshrrev_b32_e32 v100, 16, v87
	ds_read2st64_b32 v[89:90], v107 offset0:84 offset1:91
	v_fma_f16 v35, v9, v27, v35
	v_mul_f16_sdwa v27, v9, v27 dst_sel:DWORD dst_unused:UNUSED_PAD src0_sel:WORD_1 src1_sel:DWORD
	v_lshrrev_b32_e32 v101, 16, v84
	v_fma_f16 v9, v9, v99, -v27
	v_mul_f16_sdwa v27, v10, v100 dst_sel:DWORD dst_unused:UNUSED_PAD src0_sel:WORD_1 src1_sel:DWORD
	v_mul_f16_sdwa v76, v10, v87 dst_sel:DWORD dst_unused:UNUSED_PAD src0_sel:WORD_1 src1_sel:DWORD
	v_fma_f16 v27, v10, v87, v27
	v_fma_f16 v10, v10, v100, -v76
	v_mul_f16_sdwa v76, v11, v101 dst_sel:DWORD dst_unused:UNUSED_PAD src0_sel:WORD_1 src1_sel:DWORD
	v_lshrrev_b32_e32 v102, 16, v86
	v_fma_f16 v83, v11, v84, v76
	v_mul_f16_sdwa v76, v11, v84 dst_sel:DWORD dst_unused:UNUSED_PAD src0_sel:WORD_1 src1_sel:DWORD
	ds_read2st64_b32 v[91:92], v107 offset0:154 offset1:161
	v_fma_f16 v84, v11, v101, -v76
	v_mul_f16_sdwa v11, v12, v102 dst_sel:DWORD dst_unused:UNUSED_PAD src0_sel:WORD_1 src1_sel:DWORD
	s_waitcnt lgkmcnt(1)
	v_lshrrev_b32_e32 v103, 16, v89
	v_fma_f16 v85, v12, v86, v11
	v_mul_f16_sdwa v11, v12, v86 dst_sel:DWORD dst_unused:UNUSED_PAD src0_sel:WORD_1 src1_sel:DWORD
	ds_read2st64_b32 v[93:94], v107 offset0:56 offset1:63
	v_fma_f16 v12, v12, v102, -v11
	v_mul_f16_sdwa v11, v13, v103 dst_sel:DWORD dst_unused:UNUSED_PAD src0_sel:WORD_1 src1_sel:DWORD
	v_lshrrev_b32_e32 v104, 16, v88
	v_fma_f16 v86, v13, v89, v11
	v_mul_f16_sdwa v11, v13, v89 dst_sel:DWORD dst_unused:UNUSED_PAD src0_sel:WORD_1 src1_sel:DWORD
	v_fma_f16 v87, v13, v103, -v11
	v_mul_f16_sdwa v11, v14, v104 dst_sel:DWORD dst_unused:UNUSED_PAD src0_sel:WORD_1 src1_sel:DWORD
	s_waitcnt lgkmcnt(1)
	v_lshrrev_b32_e32 v105, 16, v91
	v_fma_f16 v89, v14, v88, v11
	v_mul_f16_sdwa v11, v14, v88 dst_sel:DWORD dst_unused:UNUSED_PAD src0_sel:WORD_1 src1_sel:DWORD
	ds_read2st64_b32 v[95:96], v107 offset0:126 offset1:133
	v_fma_f16 v14, v14, v104, -v11
	v_mul_f16_sdwa v11, v15, v105 dst_sel:DWORD dst_unused:UNUSED_PAD src0_sel:WORD_1 src1_sel:DWORD
	s_waitcnt lgkmcnt(1)
	v_lshrrev_b32_e32 v106, 16, v93
	v_fma_f16 v88, v15, v91, v11
	v_mul_f16_sdwa v11, v15, v91 dst_sel:DWORD dst_unused:UNUSED_PAD src0_sel:WORD_1 src1_sel:DWORD
	v_fma_f16 v91, v15, v105, -v11
	v_mul_f16_sdwa v11, v16, v106 dst_sel:DWORD dst_unused:UNUSED_PAD src0_sel:WORD_1 src1_sel:DWORD
	v_lshrrev_b32_e32 v108, 16, v90
	v_fma_f16 v98, v16, v93, v11
	v_mul_f16_sdwa v11, v16, v93 dst_sel:DWORD dst_unused:UNUSED_PAD src0_sel:WORD_1 src1_sel:DWORD
	ds_read_b32 v111, v107 offset:43008
	v_fma_f16 v16, v16, v106, -v11
	v_mul_f16_sdwa v11, v17, v108 dst_sel:DWORD dst_unused:UNUSED_PAD src0_sel:WORD_1 src1_sel:DWORD
	s_waitcnt lgkmcnt(1)
	v_lshrrev_b32_e32 v109, 16, v95
	v_fma_f16 v93, v17, v90, v11
	v_mul_f16_sdwa v11, v17, v90 dst_sel:DWORD dst_unused:UNUSED_PAD src0_sel:WORD_1 src1_sel:DWORD
	v_fma_f16 v90, v17, v108, -v11
	v_mul_f16_sdwa v11, v18, v109 dst_sel:DWORD dst_unused:UNUSED_PAD src0_sel:WORD_1 src1_sel:DWORD
	v_lshrrev_b32_e32 v110, 16, v92
	v_lshrrev_b32_e32 v112, 16, v94
	;; [unrolled: 1-line block ×4, first 2 shown]
	v_fma_f16 v99, v18, v95, v11
	v_mul_f16_sdwa v11, v18, v95 dst_sel:DWORD dst_unused:UNUSED_PAD src0_sel:WORD_1 src1_sel:DWORD
	v_mul_f16_sdwa v13, v20, v94 dst_sel:DWORD dst_unused:UNUSED_PAD src0_sel:WORD_1 src1_sel:DWORD
	v_fma_f16 v95, v18, v109, -v11
	v_mul_f16_sdwa v11, v19, v110 dst_sel:DWORD dst_unused:UNUSED_PAD src0_sel:WORD_1 src1_sel:DWORD
	v_fma_f16 v15, v20, v112, -v13
	v_mul_f16_sdwa v13, v21, v113 dst_sel:DWORD dst_unused:UNUSED_PAD src0_sel:WORD_1 src1_sel:DWORD
	v_mul_f16_sdwa v18, v22, v114 dst_sel:DWORD dst_unused:UNUSED_PAD src0_sel:WORD_1 src1_sel:DWORD
	s_waitcnt lgkmcnt(0)
	v_lshrrev_b32_e32 v115, 16, v111
	v_fma_f16 v100, v19, v92, v11
	v_mul_f16_sdwa v11, v19, v92 dst_sel:DWORD dst_unused:UNUSED_PAD src0_sel:WORD_1 src1_sel:DWORD
	v_fma_f16 v13, v21, v75, v13
	v_mul_f16_sdwa v17, v21, v75 dst_sel:DWORD dst_unused:UNUSED_PAD src0_sel:WORD_1 src1_sel:DWORD
	;; [unrolled: 2-line block ×3, first 2 shown]
	v_fma_f16 v92, v19, v110, -v11
	v_fma_f16 v17, v21, v113, -v17
	;; [unrolled: 1-line block ×3, first 2 shown]
	v_mul_f16_sdwa v18, v23, v115 dst_sel:DWORD dst_unused:UNUSED_PAD src0_sel:WORD_1 src1_sel:DWORD
	v_add_f16_e32 v21, v4, v26
	v_mul_f16_sdwa v11, v20, v112 dst_sel:DWORD dst_unused:UNUSED_PAD src0_sel:WORD_1 src1_sel:DWORD
	v_fma_f16 v76, v23, v111, v18
	v_mul_f16_sdwa v18, v23, v111 dst_sel:DWORD dst_unused:UNUSED_PAD src0_sel:WORD_1 src1_sel:DWORD
	v_fma_f16 v22, v21, -0.5, v24
	v_sub_f16_e32 v77, v1, v7
	s_mov_b32 s3, 0xbb9c
	s_movk_i32 s7, 0x3b9c
	v_fma_f16 v11, v20, v94, v11
	v_fma_f16 v20, v23, v115, -v18
	v_fma_f16 v21, v77, s3, v22
	v_sub_f16_e32 v94, v5, v6
	s_mov_b32 s2, 0xb8b4
	v_sub_f16_e32 v23, v116, v4
	v_sub_f16_e32 v96, v33, v26
	v_fma_f16 v22, v77, s7, v22
	s_movk_i32 s14, 0x38b4
	v_fma_f16 v21, v94, s2, v21
	v_add_f16_e32 v23, v23, v96
	s_movk_i32 s6, 0x34f2
	v_fma_f16 v22, v94, s14, v22
	v_add_f16_e32 v18, v24, v116
	v_fma_f16 v21, v23, s6, v21
	v_fma_f16 v22, v23, s6, v22
	v_add_f16_e32 v23, v116, v33
	v_lshrrev_b32_e32 v32, 16, v24
	v_add_f16_e32 v18, v18, v4
	v_fma_f16 v24, v23, -0.5, v24
	v_add_f16_e32 v18, v18, v26
	v_fma_f16 v23, v94, s7, v24
	v_sub_f16_e32 v96, v4, v116
	v_sub_f16_e32 v101, v26, v33
	v_fma_f16 v24, v94, s3, v24
	v_add_f16_e32 v94, v5, v6
	v_add_f16_e32 v18, v18, v33
	v_fma_f16 v23, v77, s2, v23
	v_add_f16_e32 v96, v96, v101
	v_fma_f16 v24, v77, s14, v24
	v_fma_f16 v94, v94, -0.5, v32
	v_sub_f16_e32 v33, v116, v33
	v_fma_f16 v23, v96, s6, v23
	v_fma_f16 v77, v96, s6, v24
	;; [unrolled: 1-line block ×3, first 2 shown]
	v_sub_f16_e32 v4, v4, v26
	v_fma_f16 v26, v4, s14, v96
	v_sub_f16_e32 v96, v1, v5
	v_sub_f16_e32 v101, v7, v6
	v_fma_f16 v94, v33, s3, v94
	v_add_f16_e32 v96, v96, v101
	v_fma_f16 v94, v4, s2, v94
	v_fma_f16 v26, v96, s6, v26
	;; [unrolled: 1-line block ×3, first 2 shown]
	v_add_f16_e32 v96, v1, v7
	v_add_f16_e32 v24, v32, v1
	v_fma_f16 v32, v96, -0.5, v32
	v_add_f16_e32 v24, v24, v5
	v_fma_f16 v96, v4, s3, v32
	v_sub_f16_e32 v1, v5, v1
	v_sub_f16_e32 v5, v6, v7
	v_fma_f16 v4, v4, s7, v32
	v_fma_f16 v96, v33, s14, v96
	v_add_f16_e32 v1, v1, v5
	v_fma_f16 v4, v33, s2, v4
	v_fma_f16 v96, v1, s6, v96
	;; [unrolled: 1-line block ×3, first 2 shown]
	v_add_f16_e32 v1, v25, v34
	v_add_f16_e32 v1, v1, v35
	;; [unrolled: 1-line block ×6, first 2 shown]
	v_fma_f16 v1, v1, -0.5, v25
	v_sub_f16_e32 v4, v8, v84
	v_add_f16_e32 v24, v24, v7
	v_fma_f16 v5, v4, s3, v1
	v_sub_f16_e32 v6, v9, v10
	v_sub_f16_e32 v7, v34, v35
	;; [unrolled: 1-line block ×3, first 2 shown]
	v_fma_f16 v1, v4, s7, v1
	v_add_f16_e32 v7, v7, v101
	v_fma_f16 v1, v6, s14, v1
	v_fma_f16 v102, v7, s6, v1
	v_add_f16_e32 v1, v34, v83
	v_fma_f16 v5, v6, s2, v5
	v_fma_f16 v1, v1, -0.5, v25
	v_lshrrev_b32_e32 v97, 16, v25
	v_fma_f16 v101, v7, s6, v5
	v_fma_f16 v5, v6, s7, v1
	v_sub_f16_e32 v7, v35, v34
	v_sub_f16_e32 v25, v27, v83
	v_fma_f16 v1, v6, s3, v1
	v_add_f16_e32 v7, v7, v25
	v_fma_f16 v1, v4, s14, v1
	v_fma_f16 v103, v7, s6, v1
	v_add_f16_e32 v1, v97, v8
	v_add_f16_e32 v1, v1, v9
	;; [unrolled: 1-line block ×5, first 2 shown]
	v_fma_f16 v5, v4, s2, v5
	v_fma_f16 v1, v1, -0.5, v97
	v_sub_f16_e32 v4, v34, v83
	v_fma_f16 v25, v7, s6, v5
	v_fma_f16 v5, v4, s7, v1
	v_sub_f16_e32 v6, v35, v27
	v_sub_f16_e32 v7, v8, v9
	;; [unrolled: 1-line block ×3, first 2 shown]
	v_fma_f16 v1, v4, s3, v1
	ds_read2st64_b32 v[2:3], v107 offset0:14 offset1:21
	v_add_f16_e32 v7, v7, v27
	v_fma_f16 v1, v6, s2, v1
	v_fma_f16 v34, v7, s6, v1
	v_add_f16_e32 v1, v8, v84
	v_fma_f16 v5, v6, s14, v5
	v_fma_f16 v1, v1, -0.5, v97
	v_fma_f16 v27, v7, s6, v5
	v_fma_f16 v5, v6, s3, v1
	v_sub_f16_e32 v7, v9, v8
	v_sub_f16_e32 v8, v10, v84
	v_fma_f16 v1, v6, s7, v1
	v_add_f16_e32 v7, v7, v8
	v_fma_f16 v1, v4, s2, v1
	v_fma_f16 v83, v7, s6, v1
	s_waitcnt lgkmcnt(0)
	v_add_f16_e32 v1, v2, v85
	v_add_f16_e32 v1, v1, v86
	;; [unrolled: 1-line block ×5, first 2 shown]
	v_fma_f16 v5, v4, s14, v5
	v_fma_f16 v1, v1, -0.5, v2
	v_sub_f16_e32 v4, v12, v91
	v_fma_f16 v35, v7, s6, v5
	v_fma_f16 v5, v4, s3, v1
	v_sub_f16_e32 v6, v87, v14
	v_sub_f16_e32 v7, v85, v86
	;; [unrolled: 1-line block ×3, first 2 shown]
	v_fma_f16 v1, v4, s7, v1
	v_add_f16_e32 v7, v7, v8
	v_fma_f16 v1, v6, s14, v1
	v_fma_f16 v105, v7, s6, v1
	v_add_f16_e32 v1, v85, v88
	v_fma_f16 v5, v6, s2, v5
	v_fma_f16 v1, v1, -0.5, v2
	v_lshrrev_b32_e32 v82, 16, v2
	v_fma_f16 v97, v7, s6, v5
	v_fma_f16 v2, v6, s7, v1
	v_sub_f16_e32 v5, v86, v85
	v_sub_f16_e32 v7, v89, v88
	v_fma_f16 v1, v6, s3, v1
	v_add_f16_e32 v5, v5, v7
	v_fma_f16 v1, v4, s14, v1
	v_fma_f16 v108, v5, s6, v1
	v_add_f16_e32 v1, v82, v12
	v_add_f16_e32 v1, v1, v87
	;; [unrolled: 1-line block ×3, first 2 shown]
	v_fma_f16 v2, v4, s2, v2
	v_add_f16_e32 v109, v1, v91
	v_add_f16_e32 v1, v87, v14
	v_fma_f16 v106, v5, s6, v2
	v_fma_f16 v1, v1, -0.5, v82
	v_sub_f16_e32 v2, v85, v88
	v_fma_f16 v4, v2, s7, v1
	v_sub_f16_e32 v5, v86, v89
	v_sub_f16_e32 v6, v12, v87
	;; [unrolled: 1-line block ×3, first 2 shown]
	v_fma_f16 v1, v2, s3, v1
	v_add_f16_e32 v6, v6, v7
	v_fma_f16 v1, v5, s2, v1
	v_fma_f16 v86, v6, s6, v1
	v_add_f16_e32 v1, v12, v91
	v_fma_f16 v4, v5, s14, v4
	v_fma_f16 v1, v1, -0.5, v82
	v_fma_f16 v85, v6, s6, v4
	v_fma_f16 v4, v5, s3, v1
	v_sub_f16_e32 v6, v87, v12
	v_sub_f16_e32 v7, v14, v91
	v_fma_f16 v1, v5, s7, v1
	v_add_f16_e32 v6, v6, v7
	v_fma_f16 v1, v2, s2, v1
	v_fma_f16 v87, v6, s6, v1
	v_add_f16_e32 v1, v3, v98
	v_add_f16_e32 v1, v1, v93
	v_add_f16_e32 v1, v1, v99
	v_add_f16_e32 v88, v1, v100
	v_add_f16_e32 v1, v93, v99
	v_fma_f16 v4, v2, s14, v4
	v_fma_f16 v2, v1, -0.5, v3
	v_sub_f16_e32 v5, v16, v92
	v_fma_f16 v82, v6, s6, v4
	v_fma_f16 v1, v5, s3, v2
	v_sub_f16_e32 v6, v90, v95
	v_sub_f16_e32 v4, v98, v93
	;; [unrolled: 1-line block ×3, first 2 shown]
	v_fma_f16 v2, v5, s7, v2
	v_fma_f16 v1, v6, s2, v1
	v_add_f16_e32 v4, v4, v7
	v_fma_f16 v2, v6, s14, v2
	v_fma_f16 v1, v4, s6, v1
	;; [unrolled: 1-line block ×3, first 2 shown]
	v_add_f16_e32 v2, v98, v100
	v_lshrrev_b32_e32 v81, 16, v3
	v_fma_f16 v3, v2, -0.5, v3
	v_fma_f16 v2, v6, s7, v3
	v_sub_f16_e32 v7, v93, v98
	v_sub_f16_e32 v8, v99, v100
	v_fma_f16 v3, v6, s3, v3
	v_add_f16_e32 v7, v7, v8
	v_fma_f16 v3, v5, s14, v3
	v_fma_f16 v2, v5, s2, v2
	;; [unrolled: 1-line block ×3, first 2 shown]
	v_add_f16_e32 v3, v81, v16
	v_add_f16_e32 v3, v3, v90
	;; [unrolled: 1-line block ×5, first 2 shown]
	v_fma_f16 v6, v3, -0.5, v81
	v_sub_f16_e32 v9, v98, v100
	v_fma_f16 v2, v7, s6, v2
	v_fma_f16 v3, v9, s7, v6
	v_sub_f16_e32 v10, v93, v99
	v_sub_f16_e32 v7, v16, v90
	;; [unrolled: 1-line block ×3, first 2 shown]
	v_fma_f16 v6, v9, s3, v6
	v_add_f16_e32 v7, v7, v8
	v_fma_f16 v6, v10, s2, v6
	v_fma_f16 v8, v7, s6, v6
	v_add_f16_e32 v6, v16, v92
	v_fma_f16 v3, v10, s14, v3
	v_fma_f16 v6, v6, -0.5, v81
	v_fma_f16 v3, v7, s6, v3
	v_fma_f16 v7, v10, s3, v6
	v_sub_f16_e32 v12, v90, v16
	v_sub_f16_e32 v14, v95, v92
	v_fma_f16 v6, v10, s7, v6
	v_fma_f16 v7, v9, s14, v7
	v_add_f16_e32 v12, v12, v14
	v_fma_f16 v6, v9, s2, v6
	v_add_f16_e32 v9, v13, v75
	v_fma_f16 v7, v12, s6, v7
	v_fma_f16 v14, v12, s6, v6
	v_fma_f16 v9, v9, -0.5, v0
	v_sub_f16_e32 v12, v15, v20
	v_fma_f16 v10, v12, s3, v9
	v_sub_f16_e32 v81, v17, v19
	v_sub_f16_e32 v16, v11, v13
	;; [unrolled: 1-line block ×3, first 2 shown]
	v_fma_f16 v9, v12, s7, v9
	v_fma_f16 v10, v81, s2, v10
	v_add_f16_e32 v16, v16, v90
	v_fma_f16 v9, v81, s14, v9
	v_fma_f16 v10, v16, s6, v10
	;; [unrolled: 1-line block ×3, first 2 shown]
	v_add_f16_e32 v16, v11, v76
	v_lshrrev_b32_e32 v78, 16, v0
	v_add_f16_e32 v6, v0, v11
	v_fma_f16 v0, v16, -0.5, v0
	v_add_f16_e32 v6, v6, v13
	v_fma_f16 v16, v81, s7, v0
	v_sub_f16_e32 v90, v13, v11
	v_sub_f16_e32 v91, v75, v76
	v_fma_f16 v0, v81, s3, v0
	v_add_f16_e32 v6, v6, v75
	v_add_f16_e32 v90, v90, v91
	v_fma_f16 v0, v12, s14, v0
	v_add_f16_e32 v81, v17, v19
	v_add_f16_e32 v6, v6, v76
	v_fma_f16 v16, v12, s2, v16
	v_fma_f16 v12, v90, s6, v0
	v_add_f16_e32 v0, v78, v15
	v_fma_f16 v81, v81, -0.5, v78
	v_sub_f16_e32 v76, v11, v76
	v_fma_f16 v16, v90, s6, v16
	v_add_f16_e32 v0, v0, v17
	v_fma_f16 v11, v76, s7, v81
	v_sub_f16_e32 v75, v13, v75
	v_sub_f16_e32 v13, v15, v17
	;; [unrolled: 1-line block ×3, first 2 shown]
	v_add_f16_e32 v0, v0, v19
	v_fma_f16 v11, v75, s14, v11
	v_add_f16_e32 v90, v13, v90
	v_add_f16_e32 v0, v0, v20
	v_fma_f16 v13, v90, s6, v11
	v_fma_f16 v11, v76, s3, v81
	v_add_f16_e32 v81, v15, v20
	v_sub_f16_e32 v15, v17, v15
	v_sub_f16_e32 v17, v19, v20
	s_barrier
	buffer_load_dword v20, off, s[24:27], 0 offset:212 ; 4-byte Folded Reload
	v_fma_f16 v78, v81, -0.5, v78
	v_fma_f16 v81, v75, s3, v78
	v_fma_f16 v19, v75, s7, v78
	;; [unrolled: 1-line block ×3, first 2 shown]
	v_add_f16_e32 v15, v15, v17
	v_fma_f16 v19, v76, s2, v19
	v_fma_f16 v17, v15, s6, v81
	;; [unrolled: 1-line block ×3, first 2 shown]
	v_pack_b32_f16 v18, v18, v24
	v_pack_b32_f16 v19, v21, v26
	v_fma_f16 v11, v75, s2, v11
	v_fma_f16 v11, v90, s6, v11
	s_waitcnt vmcnt(0)
	ds_write2_b32 v20, v18, v19 offset1:28
	v_pack_b32_f16 v18, v23, v96
	v_pack_b32_f16 v19, v77, v32
	ds_write2_b32 v20, v18, v19 offset0:56 offset1:84
	v_pack_b32_f16 v18, v22, v94
	ds_write_b32 v20, v18 offset:448
	buffer_load_dword v20, off, s[24:27], 0 offset:216 ; 4-byte Folded Reload
	v_pack_b32_f16 v18, v33, v104
	v_pack_b32_f16 v19, v101, v27
	s_waitcnt vmcnt(0)
	ds_write2_b32 v20, v18, v19 offset1:28
	v_pack_b32_f16 v18, v25, v35
	v_pack_b32_f16 v19, v103, v83
	ds_write2_b32 v20, v18, v19 offset0:56 offset1:84
	v_pack_b32_f16 v18, v102, v34
	ds_write_b32 v20, v18 offset:448
	buffer_load_dword v20, off, s[24:27], 0 offset:220 ; 4-byte Folded Reload
	v_pack_b32_f16 v18, v84, v109
	v_pack_b32_f16 v19, v97, v85
	;; [unrolled: 10-line block ×4, first 2 shown]
	s_waitcnt vmcnt(0)
	ds_write2_b32 v20, v18, v19 offset1:28
	v_pack_b32_f16 v18, v16, v17
	v_pack_b32_f16 v19, v12, v15
	ds_write2_b32 v20, v18, v19 offset0:56 offset1:84
	v_pack_b32_f16 v18, v9, v11
	ds_write_b32 v20, v18 offset:448
	s_waitcnt lgkmcnt(0)
	s_barrier
	ds_read_b32 v81, v107 offset:5600
	ds_read_b32 v78, v107 offset:8400
	;; [unrolled: 1-line block ×14, first 2 shown]
	ds_read_b32 v18, v107
	ds_read_b32 v19, v107 offset:42000
	s_and_saveexec_b64 s[2:3], s[4:5]
	s_cbranch_execz .LBB0_27
; %bb.26:
	ds_read_b32 v1, v107 offset:1792
	ds_read_b32 v2, v107 offset:4592
	ds_read_b32 v5, v107 offset:7392
	ds_read_b32 v4, v107 offset:10192
	ds_read_b32 v32, v107 offset:35392
	ds_read_b32 v33, v107 offset:38192
	ds_read_b32 v35, v107 offset:40992
	ds_read_b32 v34, v107 offset:43792
	ds_read_b32 v6, v107 offset:12992
	ds_read_b32 v10, v107 offset:15792
	ds_read_b32 v16, v107 offset:18592
	ds_read_b32 v12, v107 offset:21392
	ds_read_b32 v9, v107 offset:24192
	ds_read_b32 v68, v107 offset:26992
	ds_read_b32 v79, v107 offset:29792
	ds_read_b32 v70, v107 offset:32592
	s_waitcnt lgkmcnt(11)
	buffer_store_dword v32, off, s[24:27], 0 offset:232 ; 4-byte Folded Spill
	v_lshrrev_b32_e32 v32, 16, v32
	buffer_store_dword v32, off, s[24:27], 0 offset:236 ; 4-byte Folded Spill
	s_waitcnt lgkmcnt(10)
	buffer_store_dword v33, off, s[24:27], 0 offset:40 ; 4-byte Folded Spill
	v_lshrrev_b32_e32 v32, 16, v33
	buffer_store_dword v32, off, s[24:27], 0 offset:48 ; 4-byte Folded Spill
	s_waitcnt lgkmcnt(9)
	buffer_store_dword v35, off, s[24:27], 0 offset:56 ; 4-byte Folded Spill
	v_lshrrev_b32_e32 v32, 16, v35
	v_lshrrev_b32_e32 v3, 16, v1
	;; [unrolled: 1-line block ×5, first 2 shown]
	s_waitcnt lgkmcnt(7)
	v_lshrrev_b32_e32 v0, 16, v6
	s_waitcnt lgkmcnt(6)
	v_lshrrev_b32_e32 v13, 16, v10
	;; [unrolled: 2-line block ×8, first 2 shown]
	buffer_store_dword v32, off, s[24:27], 0 offset:60 ; 4-byte Folded Spill
	buffer_store_dword v34, off, s[24:27], 0 offset:44 ; 4-byte Folded Spill
	v_lshrrev_b32_e32 v32, 16, v34
	buffer_store_dword v32, off, s[24:27], 0 offset:52 ; 4-byte Folded Spill
.LBB0_27:
	s_or_b64 exec, exec, s[2:3]
	s_waitcnt lgkmcnt(2)
	v_lshrrev_b32_e32 v33, 16, v82
	v_mul_f16_sdwa v95, v28, v33 dst_sel:DWORD dst_unused:UNUSED_PAD src0_sel:WORD_1 src1_sel:DWORD
	v_lshrrev_b32_e32 v34, 16, v81
	v_fma_f16 v95, v28, v82, v95
	v_mul_f16_sdwa v82, v28, v82 dst_sel:DWORD dst_unused:UNUSED_PAD src0_sel:WORD_1 src1_sel:DWORD
	v_fma_f16 v28, v28, v33, -v82
	v_mul_f16_sdwa v33, v29, v34 dst_sel:DWORD dst_unused:UNUSED_PAD src0_sel:WORD_1 src1_sel:DWORD
	v_lshrrev_b32_e32 v35, 16, v78
	v_fma_f16 v33, v29, v81, v33
	v_mul_f16_sdwa v81, v29, v81 dst_sel:DWORD dst_unused:UNUSED_PAD src0_sel:WORD_1 src1_sel:DWORD
	v_fma_f16 v29, v29, v34, -v81
	;; [unrolled: 5-line block ×13, first 2 shown]
	v_mul_f16_sdwa v72, v73, v93 dst_sel:DWORD dst_unused:UNUSED_PAD src0_sel:WORD_1 src1_sel:DWORD
	s_waitcnt lgkmcnt(0)
	v_lshrrev_b32_e32 v94, 16, v19
	v_fma_f16 v72, v73, v20, v72
	v_mul_f16_sdwa v20, v73, v20 dst_sel:DWORD dst_unused:UNUSED_PAD src0_sel:WORD_1 src1_sel:DWORD
	v_fma_f16 v20, v73, v93, -v20
	v_mul_f16_sdwa v73, v74, v94 dst_sel:DWORD dst_unused:UNUSED_PAD src0_sel:WORD_1 src1_sel:DWORD
	v_fma_f16 v73, v74, v19, v73
	v_mul_f16_sdwa v19, v74, v19 dst_sel:DWORD dst_unused:UNUSED_PAD src0_sel:WORD_1 src1_sel:DWORD
	v_lshrrev_b32_e32 v32, 16, v18
	v_fma_f16 v19, v74, v94, -v19
	v_sub_f16_e32 v38, v18, v38
	v_sub_f16_e32 v26, v32, v26
	;; [unrolled: 1-line block ×16, first 2 shown]
	v_fma_f16 v18, v18, 2.0, -v38
	v_fma_f16 v32, v32, 2.0, -v26
	;; [unrolled: 1-line block ×16, first 2 shown]
	v_sub_f16_e32 v35, v18, v35
	v_sub_f16_e32 v31, v32, v31
	v_sub_f16_e32 v74, v33, v74
	v_sub_f16_e32 v37, v29, v37
	v_sub_f16_e32 v77, v76, v77
	v_sub_f16_e32 v36, v28, v36
	v_sub_f16_e32 v75, v34, v75
	v_sub_f16_e32 v27, v30, v27
	v_fma_f16 v18, v18, 2.0, -v35
	v_fma_f16 v32, v32, 2.0, -v31
	;; [unrolled: 1-line block ×8, first 2 shown]
	v_sub_f16_e32 v33, v18, v33
	v_sub_f16_e32 v29, v32, v29
	;; [unrolled: 1-line block ×4, first 2 shown]
	v_fma_f16 v18, v18, 2.0, -v33
	v_fma_f16 v32, v32, 2.0, -v29
	;; [unrolled: 1-line block ×4, first 2 shown]
	v_sub_f16_e32 v76, v18, v76
	v_sub_f16_e32 v28, v32, v28
	v_fma_f16 v18, v18, 2.0, -v76
	v_fma_f16 v32, v32, 2.0, -v28
	s_waitcnt vmcnt(0)
	s_barrier
	v_pack_b32_f16 v18, v18, v32
	buffer_load_dword v32, off, s[24:27], 0 offset:240 ; 4-byte Folded Reload
	v_add_f16_e32 v22, v38, v22
	v_sub_f16_e32 v42, v26, v42
	v_add_f16_e32 v20, v40, v20
	v_sub_f16_e32 v72, v24, v72
	v_fma_f16 v38, v38, 2.0, -v22
	v_fma_f16 v26, v26, 2.0, -v42
	;; [unrolled: 1-line block ×4, first 2 shown]
	s_mov_b32 s6, 0xb9a8
	v_add_f16_e32 v21, v39, v21
	v_sub_f16_e32 v43, v25, v43
	v_add_f16_e32 v19, v41, v19
	v_sub_f16_e32 v73, v23, v73
	v_fma_f16 v78, v40, s6, v38
	v_fma_f16 v81, v24, s6, v26
	s_movk_i32 s7, 0x39a8
	v_fma_f16 v39, v39, 2.0, -v21
	v_fma_f16 v25, v25, 2.0, -v43
	;; [unrolled: 1-line block ×4, first 2 shown]
	v_fma_f16 v24, v24, s7, v78
	v_fma_f16 v40, v40, s6, v81
	;; [unrolled: 1-line block ×10, first 2 shown]
	v_fma_f16 v38, v38, 2.0, -v24
	v_fma_f16 v26, v26, 2.0, -v40
	v_add_f16_e32 v37, v35, v37
	v_sub_f16_e32 v74, v31, v74
	v_fma_f16 v39, v39, 2.0, -v23
	v_fma_f16 v25, v25, 2.0, -v41
	v_add_f16_e32 v27, v77, v27
	v_sub_f16_e32 v75, v36, v75
	v_fma_f16 v78, v19, s7, v21
	v_fma_f16 v81, v73, s7, v43
	s_mov_b32 s14, 0xbb64
	v_fma_f16 v35, v35, 2.0, -v37
	v_fma_f16 v31, v31, 2.0, -v74
	;; [unrolled: 1-line block ×4, first 2 shown]
	v_fma_f16 v73, v73, s7, v78
	v_fma_f16 v19, v19, s6, v81
	;; [unrolled: 1-line block ×4, first 2 shown]
	s_movk_i32 s16, 0x361f
	s_mov_b32 s15, 0xb61f
	v_fma_f16 v22, v22, 2.0, -v72
	v_fma_f16 v42, v42, 2.0, -v20
	;; [unrolled: 1-line block ×4, first 2 shown]
	v_fma_f16 v25, v25, s16, v78
	v_fma_f16 v39, v39, s15, v81
	;; [unrolled: 1-line block ×8, first 2 shown]
	s_movk_i32 s17, 0x3b64
	v_fma_f16 v43, v43, s17, v78
	v_fma_f16 v21, v21, s14, v81
	;; [unrolled: 1-line block ×4, first 2 shown]
	v_fma_f16 v38, v38, 2.0, -v25
	v_fma_f16 v26, v26, 2.0, -v39
	v_fma_f16 v41, v41, s17, v78
	v_fma_f16 v23, v23, s14, v81
	v_fma_f16 v78, v27, s7, v37
	v_fma_f16 v81, v75, s7, v74
	v_fma_f16 v35, v35, 2.0, -v36
	v_fma_f16 v31, v31, 2.0, -v77
	;; [unrolled: 1-line block ×4, first 2 shown]
	v_add_f16_e32 v30, v33, v30
	v_sub_f16_e32 v34, v29, v34
	v_fma_f16 v75, v75, s7, v78
	v_fma_f16 v27, v27, s6, v81
	;; [unrolled: 1-line block ×4, first 2 shown]
	v_pack_b32_f16 v26, v38, v26
	v_fma_f16 v33, v33, 2.0, -v30
	v_fma_f16 v29, v29, 2.0, -v34
	;; [unrolled: 1-line block ×4, first 2 shown]
	v_fma_f16 v19, v19, s16, v78
	v_fma_f16 v73, v73, s15, v81
	s_waitcnt vmcnt(0)
	ds_write2_b32 v32, v18, v26 offset1:140
	v_pack_b32_f16 v18, v35, v31
	v_pack_b32_f16 v22, v22, v42
	v_add_u32_e32 v26, 0x400, v32
	v_fma_f16 v37, v37, 2.0, -v75
	v_fma_f16 v74, v74, 2.0, -v27
	;; [unrolled: 1-line block ×4, first 2 shown]
	ds_write2_b32 v26, v18, v22 offset0:24 offset1:164
	v_pack_b32_f16 v18, v33, v29
	v_pack_b32_f16 v22, v24, v40
	v_add_u32_e32 v24, 0x800, v32
	ds_write2_b32 v24, v18, v22 offset0:48 offset1:188
	v_pack_b32_f16 v18, v37, v74
	v_pack_b32_f16 v20, v72, v20
	v_add_u32_e32 v22, 0xc00, v32
	;; [unrolled: 4-line block ×6, first 2 shown]
	ds_write2_b32 v20, v18, v19 offset0:40 offset1:180
	s_and_saveexec_b64 s[2:3], s[4:5]
	s_cbranch_execz .LBB0_29
; %bb.28:
	buffer_load_dword v72, off, s[24:27], 0 offset:260 ; 4-byte Folded Reload
	buffer_load_dword v73, off, s[24:27], 0 offset:264 ; 4-byte Folded Reload
	buffer_load_dword v74, off, s[24:27], 0 offset:268 ; 4-byte Folded Reload
	buffer_load_dword v75, off, s[24:27], 0 offset:272 ; 4-byte Folded Reload
	buffer_load_dword v81, off, s[24:27], 0 offset:276 ; 4-byte Folded Reload
	buffer_load_dword v82, off, s[24:27], 0 offset:280 ; 4-byte Folded Reload
	buffer_load_dword v83, off, s[24:27], 0 offset:284 ; 4-byte Folded Reload
	buffer_load_dword v84, off, s[24:27], 0 offset:288 ; 4-byte Folded Reload
	buffer_load_dword v41, off, s[24:27], 0 offset:292 ; 4-byte Folded Reload
	buffer_load_dword v42, off, s[24:27], 0 offset:296 ; 4-byte Folded Reload
	buffer_load_dword v43, off, s[24:27], 0 offset:300 ; 4-byte Folded Reload
	buffer_load_dword v24, off, s[24:27], 0 offset:60 ; 4-byte Folded Reload
	buffer_load_dword v23, off, s[24:27], 0 offset:56 ; 4-byte Folded Reload
	v_mul_f16_sdwa v19, v45, v79 dst_sel:DWORD dst_unused:UNUSED_PAD src0_sel:WORD_1 src1_sel:DWORD
	v_fma_f16 v19, v45, v80, -v19
	buffer_load_dword v40, off, s[24:27], 0 offset:44 ; 4-byte Folded Reload
	buffer_load_dword v76, off, s[24:27], 0 offset:48 ; 4-byte Folded Reload
	v_mul_f16_sdwa v30, v46, v70 dst_sel:DWORD dst_unused:UNUSED_PAD src0_sel:WORD_1 src1_sel:DWORD
	v_mul_f16_sdwa v35, v44, v68 dst_sel:DWORD dst_unused:UNUSED_PAD src0_sel:WORD_1 src1_sel:DWORD
	v_fma_f16 v30, v46, v71, -v30
	v_fma_f16 v35, v44, v69, -v35
	s_movk_i32 s4, 0x8c0
	s_waitcnt vmcnt(13)
	v_mul_f16_sdwa v18, v73, v5 dst_sel:DWORD dst_unused:UNUSED_PAD src0_sel:WORD_1 src1_sel:DWORD
	v_fma_f16 v18, v73, v14, -v18
	s_waitcnt vmcnt(9)
	v_mul_f16_sdwa v20, v82, v17 dst_sel:DWORD dst_unused:UNUSED_PAD src0_sel:WORD_1 src1_sel:DWORD
	v_mul_f16_sdwa v14, v73, v14 dst_sel:DWORD dst_unused:UNUSED_PAD src0_sel:WORD_1 src1_sel:DWORD
	v_fma_f16 v20, v82, v16, v20
	v_mul_f16_sdwa v16, v82, v16 dst_sel:DWORD dst_unused:UNUSED_PAD src0_sel:WORD_1 src1_sel:DWORD
	v_fma_f16 v5, v73, v5, v14
	v_mul_f16_sdwa v14, v45, v80 dst_sel:DWORD dst_unused:UNUSED_PAD src0_sel:WORD_1 src1_sel:DWORD
	s_waitcnt vmcnt(3)
	v_mul_f16_sdwa v21, v42, v24 dst_sel:DWORD dst_unused:UNUSED_PAD src0_sel:WORD_1 src1_sel:DWORD
	v_fma_f16 v16, v82, v17, -v16
	v_fma_f16 v14, v45, v79, v14
	buffer_load_dword v45, off, s[24:27], 0 offset:232 ; 4-byte Folded Reload
	buffer_load_dword v73, off, s[24:27], 0 offset:236 ; 4-byte Folded Reload
	;; [unrolled: 1-line block ×3, first 2 shown]
	s_waitcnt vmcnt(5)
	v_mul_f16_sdwa v17, v42, v23 dst_sel:DWORD dst_unused:UNUSED_PAD src0_sel:WORD_1 src1_sel:DWORD
	v_fma_f16 v21, v42, v23, v21
	v_fma_f16 v17, v42, v24, -v17
	buffer_load_dword v42, off, s[24:27], 0 offset:40 ; 4-byte Folded Reload
	v_mul_f16_sdwa v24, v75, v6 dst_sel:DWORD dst_unused:UNUSED_PAD src0_sel:WORD_1 src1_sel:DWORD
	v_mul_f16_sdwa v29, v74, v4 dst_sel:DWORD dst_unused:UNUSED_PAD src0_sel:WORD_1 src1_sel:DWORD
	;; [unrolled: 1-line block ×5, first 2 shown]
	v_fma_f16 v24, v75, v0, -v24
	v_fma_f16 v29, v74, v8, -v29
	v_fma_f16 v31, v83, v12, v31
	v_fma_f16 v34, v72, v7, -v34
	v_fma_f16 v36, v81, v10, v36
	v_mul_f16_sdwa v12, v83, v12 dst_sel:DWORD dst_unused:UNUSED_PAD src0_sel:WORD_1 src1_sel:DWORD
	v_mul_f16_sdwa v8, v74, v8 dst_sel:DWORD dst_unused:UNUSED_PAD src0_sel:WORD_1 src1_sel:DWORD
	v_mul_f16_sdwa v10, v81, v10 dst_sel:DWORD dst_unused:UNUSED_PAD src0_sel:WORD_1 src1_sel:DWORD
	v_mul_f16_sdwa v7, v72, v7 dst_sel:DWORD dst_unused:UNUSED_PAD src0_sel:WORD_1 src1_sel:DWORD
	v_mul_f16_sdwa v0, v75, v0 dst_sel:DWORD dst_unused:UNUSED_PAD src0_sel:WORD_1 src1_sel:DWORD
	v_mul_f16_sdwa v26, v84, v11 dst_sel:DWORD dst_unused:UNUSED_PAD src0_sel:WORD_1 src1_sel:DWORD
	v_fma_f16 v12, v83, v15, -v12
	s_waitcnt vmcnt(5)
	v_mul_f16_sdwa v15, v43, v40 dst_sel:DWORD dst_unused:UNUSED_PAD src0_sel:WORD_1 src1_sel:DWORD
	v_fma_f16 v4, v74, v4, v8
	v_mul_f16_sdwa v8, v46, v71 dst_sel:DWORD dst_unused:UNUSED_PAD src0_sel:WORD_1 src1_sel:DWORD
	v_fma_f16 v10, v81, v13, -v10
	v_fma_f16 v2, v72, v2, v7
	v_mul_f16_sdwa v7, v44, v69 dst_sel:DWORD dst_unused:UNUSED_PAD src0_sel:WORD_1 src1_sel:DWORD
	v_fma_f16 v0, v75, v6, v0
	v_fma_f16 v26, v84, v9, v26
	;; [unrolled: 1-line block ×4, first 2 shown]
	v_mul_f16_sdwa v9, v84, v9 dst_sel:DWORD dst_unused:UNUSED_PAD src0_sel:WORD_1 src1_sel:DWORD
	v_sub_f16_e32 v21, v20, v21
	v_sub_f16_e32 v17, v16, v17
	;; [unrolled: 1-line block ×8, first 2 shown]
	v_fma_f16 v9, v84, v11, -v9
	v_sub_f16_e32 v19, v18, v19
	v_add_f16_e32 v23, v17, v14
	v_sub_f16_e32 v9, v3, v9
	v_fma_f16 v16, v16, 2.0, -v17
	v_fma_f16 v1, v1, 2.0, -v26
	;; [unrolled: 1-line block ×10, first 2 shown]
	v_sub_f16_e32 v20, v5, v20
	v_sub_f16_e32 v16, v18, v16
	v_fma_f16 v5, v5, 2.0, -v20
	v_sub_f16_e32 v22, v19, v21
	v_fma_f16 v19, v19, 2.0, -v22
	v_fma_f16 v14, v14, 2.0, -v23
	s_waitcnt vmcnt(4)
	v_mul_f16_sdwa v37, v41, v76 dst_sel:DWORD dst_unused:UNUSED_PAD src0_sel:WORD_1 src1_sel:DWORD
	s_waitcnt vmcnt(3)
	v_mul_f16_sdwa v25, v47, v45 dst_sel:DWORD dst_unused:UNUSED_PAD src0_sel:WORD_1 src1_sel:DWORD
	;; [unrolled: 2-line block ×4, first 2 shown]
	v_fma_f16 v15, v43, v77, -v15
	v_fma_f16 v6, v47, v45, v6
	v_fma_f16 v25, v47, v73, -v25
	s_waitcnt vmcnt(0)
	v_mul_f16_sdwa v13, v41, v42 dst_sel:DWORD dst_unused:UNUSED_PAD src0_sel:WORD_1 src1_sel:DWORD
	v_fma_f16 v37, v41, v42, v37
	v_fma_f16 v13, v41, v76, -v13
	v_fma_f16 v32, v43, v40, v32
	v_sub_f16_e32 v37, v36, v37
	v_sub_f16_e32 v15, v12, v15
	;; [unrolled: 1-line block ×6, first 2 shown]
	v_add_f16_e32 v40, v15, v8
	v_fma_f16 v0, v0, 2.0, -v6
	v_fma_f16 v10, v10, 2.0, -v13
	;; [unrolled: 1-line block ×4, first 2 shown]
	v_add_f16_e32 v41, v13, v7
	v_sub_f16_e32 v0, v1, v0
	v_sub_f16_e32 v10, v17, v10
	v_fma_f16 v13, v31, 2.0, -v32
	v_sub_f16_e32 v12, v29, v12
	v_sub_f16_e32 v15, v2, v15
	v_fma_f16 v24, v24, 2.0, -v25
	v_sub_f16_e32 v33, v30, v32
	v_sub_f16_e32 v13, v4, v13
	v_add_f16_e32 v32, v12, v15
	v_sub_f16_e32 v24, v3, v24
	v_fma_f16 v1, v1, 2.0, -v0
	v_fma_f16 v17, v17, 2.0, -v10
	;; [unrolled: 1-line block ×3, first 2 shown]
	v_sub_f16_e32 v11, v9, v6
	v_add_f16_e32 v6, v16, v0
	v_sub_f16_e32 v5, v1, v5
	v_sub_f16_e32 v12, v17, v12
	v_fma_f16 v3, v3, 2.0, -v24
	v_fma_f16 v16, v18, 2.0, -v16
	;; [unrolled: 1-line block ×4, first 2 shown]
	v_sub_f16_e32 v21, v24, v20
	v_add_f16_e32 v20, v5, v12
	v_sub_f16_e32 v16, v3, v16
	v_sub_f16_e32 v4, v2, v4
	v_sub_f16_e32 v31, v10, v13
	v_fma_f16 v29, v5, 2.0, -v20
	v_sub_f16_e32 v13, v16, v4
	v_fma_f16 v1, v1, 2.0, -v5
	v_fma_f16 v2, v2, 2.0, -v4
	;; [unrolled: 1-line block ×3, first 2 shown]
	buffer_load_dword v5, off, s[24:27], 0 offset:204 ; 4-byte Folded Reload
	buffer_load_dword v12, off, s[24:27], 0 offset:208 ; 4-byte Folded Reload
	v_add_f16_e32 v27, v25, v26
	v_fma_f16 v28, v23, s7, v27
	v_fma_f16 v34, v32, s7, v6
	;; [unrolled: 1-line block ×3, first 2 shown]
	v_sub_f16_e32 v38, v35, v37
	v_fma_f16 v45, v22, s7, v11
	v_fma_f16 v34, v31, s7, v34
	;; [unrolled: 1-line block ×3, first 2 shown]
	v_fma_f16 v22, v26, 2.0, -v27
	v_fma_f16 v42, v40, s7, v41
	v_fma_f16 v45, v23, s6, v45
	v_fma_f16 v36, v6, 2.0, -v34
	v_fma_f16 v25, v32, s6, v25
	v_fma_f16 v23, v14, s6, v22
	v_fma_f16 v26, v35, 2.0, -v38
	v_fma_f16 v30, v30, 2.0, -v33
	;; [unrolled: 1-line block ×6, first 2 shown]
	v_fma_f16 v39, v33, s7, v38
	v_fma_f16 v42, v33, s7, v42
	v_fma_f16 v37, v21, 2.0, -v25
	v_fma_f16 v23, v19, s7, v23
	v_fma_f16 v33, v30, s6, v26
	v_fma_f16 v8, v8, 2.0, -v40
	v_fma_f16 v7, v7, 2.0, -v41
	v_fma_f16 v19, v19, s6, v9
	v_fma_f16 v15, v10, s6, v0
	v_fma_f16 v21, v24, 2.0, -v21
	v_fma_f16 v39, v40, s6, v39
	v_fma_f16 v43, v42, s17, v28
	;; [unrolled: 1-line block ×11, first 2 shown]
	v_fma_f16 v44, v28, 2.0, -v43
	v_fma_f16 v19, v8, s14, v19
	v_fma_f16 v27, v27, 2.0, -v28
	v_fma_f16 v28, v38, 2.0, -v39
	;; [unrolled: 1-line block ×8, first 2 shown]
	v_fma_f16 v46, v39, s17, v45
	v_fma_f16 v30, v8, s16, v23
	v_fma_f16 v40, v14, 2.0, -v19
	v_fma_f16 v39, v38, s15, v27
	v_fma_f16 v11, v11, 2.0, -v45
	v_fma_f16 v8, v7, s14, v21
	v_fma_f16 v14, v22, s14, v9
	v_fma_f16 v3, v3, 2.0, -v16
	v_fma_f16 v39, v28, s17, v39
	v_fma_f16 v28, v28, s15, v11
	;; [unrolled: 1-line block ×4, first 2 shown]
	v_sub_f16_e32 v2, v1, v2
	v_sub_f16_e32 v4, v3, v4
	v_fma_f16 v28, v38, s14, v28
	v_fma_f16 v21, v21, 2.0, -v8
	v_fma_f16 v9, v9, 2.0, -v7
	;; [unrolled: 1-line block ×4, first 2 shown]
	v_fma_f16 v30, v33, s17, v30
	v_fma_f16 v27, v27, 2.0, -v39
	v_fma_f16 v11, v11, 2.0, -v28
	;; [unrolled: 1-line block ×3, first 2 shown]
	v_pack_b32_f16 v1, v1, v3
	v_pack_b32_f16 v3, v21, v9
	v_fma_f16 v46, v42, s15, v46
	v_fma_f16 v35, v23, 2.0, -v30
	v_fma_f16 v18, v16, 2.0, -v13
	s_waitcnt vmcnt(0)
	v_mad_legacy_u16 v5, v5, s4, v12
	v_lshlrev_b32_e32 v5, 2, v5
	ds_write2_b32 v5, v1, v3 offset1:140
	v_pack_b32_f16 v0, v0, v10
	v_pack_b32_f16 v1, v27, v11
	v_add_u32_e32 v3, 0x400, v5
	v_fma_f16 v47, v45, 2.0, -v46
	ds_write2_b32 v3, v0, v1 offset0:24 offset1:164
	v_pack_b32_f16 v0, v29, v18
	v_pack_b32_f16 v1, v35, v40
	v_add_u32_e32 v3, 0x800, v5
	ds_write2_b32 v3, v0, v1 offset0:48 offset1:188
	v_pack_b32_f16 v0, v36, v37
	v_pack_b32_f16 v1, v44, v47
	v_add_u32_e32 v3, 0xc00, v5
	;; [unrolled: 4-line block ×6, first 2 shown]
	ds_write2_b32 v2, v0, v1 offset0:40 offset1:180
.LBB0_29:
	s_or_b64 exec, exec, s[2:3]
	s_waitcnt lgkmcnt(0)
	s_barrier
	ds_read2st64_b32 v[18:19], v107 offset1:7
	ds_read2st64_b32 v[0:1], v107 offset0:28 offset1:35
	ds_read2st64_b32 v[6:7], v107 offset0:70 offset1:77
	;; [unrolled: 1-line block ×6, first 2 shown]
	s_waitcnt lgkmcnt(5)
	v_lshrrev_b32_e32 v8, 16, v1
	v_mul_f16_sdwa v70, v48, v8 dst_sel:DWORD dst_unused:UNUSED_PAD src0_sel:WORD_1 src1_sel:DWORD
	s_waitcnt lgkmcnt(4)
	v_lshrrev_b32_e32 v29, 16, v6
	v_fma_f16 v70, v48, v1, v70
	v_mul_f16_sdwa v1, v48, v1 dst_sel:DWORD dst_unused:UNUSED_PAD src0_sel:WORD_1 src1_sel:DWORD
	v_fma_f16 v48, v48, v8, -v1
	v_mul_f16_sdwa v1, v49, v29 dst_sel:DWORD dst_unused:UNUSED_PAD src0_sel:WORD_1 src1_sel:DWORD
	s_waitcnt lgkmcnt(3)
	v_lshrrev_b32_e32 v30, 16, v11
	v_fma_f16 v71, v49, v6, v1
	v_mul_f16_sdwa v1, v49, v6 dst_sel:DWORD dst_unused:UNUSED_PAD src0_sel:WORD_1 src1_sel:DWORD
	v_fma_f16 v29, v49, v29, -v1
	;; [unrolled: 6-line block ×4, first 2 shown]
	v_mul_f16_sdwa v1, v52, v33 dst_sel:DWORD dst_unused:UNUSED_PAD src0_sel:WORD_1 src1_sel:DWORD
	v_lshrrev_b32_e32 v34, 16, v7
	v_fma_f16 v51, v52, v14, v1
	v_mul_f16_sdwa v1, v52, v14 dst_sel:DWORD dst_unused:UNUSED_PAD src0_sel:WORD_1 src1_sel:DWORD
	v_fma_f16 v33, v52, v33, -v1
	v_mul_f16_sdwa v1, v53, v34 dst_sel:DWORD dst_unused:UNUSED_PAD src0_sel:WORD_1 src1_sel:DWORD
	s_waitcnt lgkmcnt(0)
	v_lshrrev_b32_e32 v35, 16, v16
	v_fma_f16 v52, v53, v7, v1
	v_mul_f16_sdwa v1, v53, v7 dst_sel:DWORD dst_unused:UNUSED_PAD src0_sel:WORD_1 src1_sel:DWORD
	ds_read2st64_b32 v[20:21], v107 offset0:84 offset1:91
	v_fma_f16 v34, v53, v34, -v1
	v_mul_f16_sdwa v1, v54, v35 dst_sel:DWORD dst_unused:UNUSED_PAD src0_sel:WORD_1 src1_sel:DWORD
	v_lshrrev_b32_e32 v36, 16, v13
	v_fma_f16 v53, v54, v16, v1
	v_mul_f16_sdwa v1, v54, v16 dst_sel:DWORD dst_unused:UNUSED_PAD src0_sel:WORD_1 src1_sel:DWORD
	v_fma_f16 v35, v54, v35, -v1
	v_mul_f16_sdwa v1, v55, v36 dst_sel:DWORD dst_unused:UNUSED_PAD src0_sel:WORD_1 src1_sel:DWORD
	v_lshrrev_b32_e32 v37, 16, v15
	v_fma_f16 v54, v55, v13, v1
	v_mul_f16_sdwa v1, v55, v13 dst_sel:DWORD dst_unused:UNUSED_PAD src0_sel:WORD_1 src1_sel:DWORD
	ds_read2st64_b32 v[22:23], v107 offset0:154 offset1:161
	v_fma_f16 v36, v55, v36, -v1
	v_mul_f16_sdwa v1, v56, v37 dst_sel:DWORD dst_unused:UNUSED_PAD src0_sel:WORD_1 src1_sel:DWORD
	s_waitcnt lgkmcnt(1)
	v_lshrrev_b32_e32 v38, 16, v20
	v_fma_f16 v55, v56, v15, v1
	v_mul_f16_sdwa v1, v56, v15 dst_sel:DWORD dst_unused:UNUSED_PAD src0_sel:WORD_1 src1_sel:DWORD
	ds_read2st64_b32 v[24:25], v107 offset0:56 offset1:63
	v_fma_f16 v37, v56, v37, -v1
	v_mul_f16_sdwa v1, v57, v38 dst_sel:DWORD dst_unused:UNUSED_PAD src0_sel:WORD_1 src1_sel:DWORD
	v_lshrrev_b32_e32 v39, 16, v17
	v_fma_f16 v56, v57, v20, v1
	v_mul_f16_sdwa v1, v57, v20 dst_sel:DWORD dst_unused:UNUSED_PAD src0_sel:WORD_1 src1_sel:DWORD
	v_fma_f16 v20, v57, v38, -v1
	v_mul_f16_sdwa v1, v58, v39 dst_sel:DWORD dst_unused:UNUSED_PAD src0_sel:WORD_1 src1_sel:DWORD
	s_waitcnt lgkmcnt(1)
	v_lshrrev_b32_e32 v40, 16, v22
	v_fma_f16 v38, v58, v17, v1
	v_mul_f16_sdwa v1, v58, v17 dst_sel:DWORD dst_unused:UNUSED_PAD src0_sel:WORD_1 src1_sel:DWORD
	ds_read2st64_b32 v[26:27], v107 offset0:126 offset1:133
	v_fma_f16 v39, v58, v39, -v1
	v_mul_f16_sdwa v1, v59, v40 dst_sel:DWORD dst_unused:UNUSED_PAD src0_sel:WORD_1 src1_sel:DWORD
	s_waitcnt lgkmcnt(1)
	v_lshrrev_b32_e32 v41, 16, v24
	v_fma_f16 v57, v59, v22, v1
	v_mul_f16_sdwa v1, v59, v22 dst_sel:DWORD dst_unused:UNUSED_PAD src0_sel:WORD_1 src1_sel:DWORD
	v_fma_f16 v22, v59, v40, -v1
	v_mul_f16_sdwa v1, v60, v41 dst_sel:DWORD dst_unused:UNUSED_PAD src0_sel:WORD_1 src1_sel:DWORD
	v_lshrrev_b32_e32 v42, 16, v21
	v_fma_f16 v40, v60, v24, v1
	v_mul_f16_sdwa v1, v60, v24 dst_sel:DWORD dst_unused:UNUSED_PAD src0_sel:WORD_1 src1_sel:DWORD
	v_fma_f16 v24, v60, v41, -v1
	v_mul_f16_sdwa v1, v61, v42 dst_sel:DWORD dst_unused:UNUSED_PAD src0_sel:WORD_1 src1_sel:DWORD
	s_waitcnt lgkmcnt(0)
	v_lshrrev_b32_e32 v43, 16, v26
	v_fma_f16 v41, v61, v21, v1
	v_mul_f16_sdwa v1, v61, v21 dst_sel:DWORD dst_unused:UNUSED_PAD src0_sel:WORD_1 src1_sel:DWORD
	v_fma_f16 v21, v61, v42, -v1
	v_mul_f16_sdwa v1, v62, v43 dst_sel:DWORD dst_unused:UNUSED_PAD src0_sel:WORD_1 src1_sel:DWORD
	v_lshrrev_b32_e32 v44, 16, v23
	ds_read_b32 v45, v107 offset:43008
	v_fma_f16 v42, v62, v26, v1
	v_mul_f16_sdwa v1, v62, v26 dst_sel:DWORD dst_unused:UNUSED_PAD src0_sel:WORD_1 src1_sel:DWORD
	v_fma_f16 v26, v62, v43, -v1
	v_mul_f16_sdwa v1, v63, v44 dst_sel:DWORD dst_unused:UNUSED_PAD src0_sel:WORD_1 src1_sel:DWORD
	v_lshrrev_b32_e32 v46, 16, v25
	v_fma_f16 v43, v63, v23, v1
	v_mul_f16_sdwa v1, v63, v23 dst_sel:DWORD dst_unused:UNUSED_PAD src0_sel:WORD_1 src1_sel:DWORD
	v_lshrrev_b32_e32 v68, 16, v27
	v_fma_f16 v23, v63, v44, -v1
	v_mul_f16_sdwa v1, v64, v46 dst_sel:DWORD dst_unused:UNUSED_PAD src0_sel:WORD_1 src1_sel:DWORD
	v_add_f16_e32 v14, v71, v49
	v_fma_f16 v11, v64, v25, v1
	v_mul_f16_sdwa v1, v64, v25 dst_sel:DWORD dst_unused:UNUSED_PAD src0_sel:WORD_1 src1_sel:DWORD
	v_mul_f16_sdwa v7, v66, v68 dst_sel:DWORD dst_unused:UNUSED_PAD src0_sel:WORD_1 src1_sel:DWORD
	v_fma_f16 v14, v14, -0.5, v18
	v_sub_f16_e32 v25, v48, v31
	s_mov_b32 s3, 0xbb9c
	s_movk_i32 s5, 0x3b9c
	s_waitcnt lgkmcnt(0)
	v_lshrrev_b32_e32 v69, 16, v45
	v_fma_f16 v13, v66, v27, v7
	v_mul_f16_sdwa v7, v66, v27 dst_sel:DWORD dst_unused:UNUSED_PAD src0_sel:WORD_1 src1_sel:DWORD
	v_fma_f16 v15, v25, s3, v14
	v_sub_f16_e32 v27, v29, v30
	s_mov_b32 s2, 0xb8b4
	v_sub_f16_e32 v17, v70, v71
	v_sub_f16_e32 v44, v50, v49
	v_fma_f16 v14, v25, s5, v14
	s_movk_i32 s6, 0x38b4
	v_lshrrev_b32_e32 v47, 16, v10
	v_mul_f16_sdwa v8, v67, v69 dst_sel:DWORD dst_unused:UNUSED_PAD src0_sel:WORD_1 src1_sel:DWORD
	v_fma_f16 v15, v27, s2, v15
	v_add_f16_e32 v17, v17, v44
	s_movk_i32 s4, 0x34f2
	v_fma_f16 v14, v27, s6, v14
	v_mul_f16_sdwa v6, v65, v47 dst_sel:DWORD dst_unused:UNUSED_PAD src0_sel:WORD_1 src1_sel:DWORD
	v_fma_f16 v16, v67, v45, v8
	v_mul_f16_sdwa v8, v67, v45 dst_sel:DWORD dst_unused:UNUSED_PAD src0_sel:WORD_1 src1_sel:DWORD
	v_fma_f16 v15, v17, s4, v15
	v_fma_f16 v14, v17, s4, v14
	v_add_f16_e32 v17, v70, v50
	v_lshrrev_b32_e32 v28, 16, v18
	v_fma_f16 v12, v65, v10, v6
	v_mul_f16_sdwa v6, v65, v10 dst_sel:DWORD dst_unused:UNUSED_PAD src0_sel:WORD_1 src1_sel:DWORD
	v_fma_f16 v10, v67, v69, -v8
	v_add_f16_e32 v8, v18, v70
	v_fma_f16 v18, v17, -0.5, v18
	v_fma_f16 v17, v27, s5, v18
	v_sub_f16_e32 v44, v71, v70
	v_sub_f16_e32 v45, v49, v50
	v_fma_f16 v18, v27, s3, v18
	v_fma_f16 v17, v25, s2, v17
	v_add_f16_e32 v44, v44, v45
	v_fma_f16 v18, v25, s6, v18
	v_add_f16_e32 v27, v29, v30
	v_add_f16_e32 v8, v8, v71
	v_fma_f16 v17, v44, s4, v17
	v_fma_f16 v18, v44, s4, v18
	v_fma_f16 v27, v27, -0.5, v28
	v_sub_f16_e32 v44, v70, v50
	v_fma_f16 v1, v64, v46, -v1
	v_fma_f16 v6, v65, v47, -v6
	v_add_f16_e32 v8, v8, v49
	v_fma_f16 v45, v44, s5, v27
	v_sub_f16_e32 v46, v71, v49
	v_sub_f16_e32 v47, v48, v29
	;; [unrolled: 1-line block ×3, first 2 shown]
	v_fma_f16 v27, v44, s3, v27
	v_add_f16_e32 v25, v28, v48
	v_fma_f16 v45, v46, s6, v45
	v_add_f16_e32 v47, v47, v49
	;; [unrolled: 2-line block ×3, first 2 shown]
	v_fma_f16 v45, v47, s4, v45
	v_fma_f16 v27, v47, s4, v27
	v_add_f16_e32 v47, v48, v31
	v_add_f16_e32 v25, v25, v30
	v_fma_f16 v28, v47, -0.5, v28
	v_add_f16_e32 v25, v25, v31
	v_fma_f16 v47, v46, s3, v28
	v_sub_f16_e32 v29, v29, v48
	v_sub_f16_e32 v30, v30, v31
	v_fma_f16 v28, v46, s5, v28
	v_add_f16_e32 v31, v52, v53
	v_fma_f16 v47, v44, s6, v47
	v_add_f16_e32 v29, v29, v30
	v_fma_f16 v28, v44, s2, v28
	v_fma_f16 v31, v31, -0.5, v19
	v_sub_f16_e32 v44, v33, v36
	v_fma_f16 v30, v29, s4, v47
	v_fma_f16 v46, v44, s3, v31
	v_sub_f16_e32 v47, v34, v35
	v_sub_f16_e32 v48, v51, v52
	;; [unrolled: 1-line block ×3, first 2 shown]
	v_fma_f16 v31, v44, s5, v31
	v_fma_f16 v46, v47, s2, v46
	v_add_f16_e32 v48, v48, v49
	v_fma_f16 v31, v47, s6, v31
	v_fma_f16 v46, v48, s4, v46
	;; [unrolled: 1-line block ×3, first 2 shown]
	v_add_f16_e32 v48, v51, v54
	v_lshrrev_b32_e32 v32, 16, v19
	v_fma_f16 v28, v29, s4, v28
	v_add_f16_e32 v29, v19, v51
	v_fma_f16 v19, v48, -0.5, v19
	v_add_f16_e32 v8, v8, v50
	v_fma_f16 v48, v47, s5, v19
	v_sub_f16_e32 v49, v52, v51
	v_sub_f16_e32 v50, v53, v54
	v_fma_f16 v19, v47, s3, v19
	v_fma_f16 v48, v44, s2, v48
	v_add_f16_e32 v49, v49, v50
	v_fma_f16 v19, v44, s6, v19
	v_add_f16_e32 v47, v34, v35
	v_add_f16_e32 v29, v29, v52
	v_fma_f16 v48, v49, s4, v48
	v_fma_f16 v19, v49, s4, v19
	v_fma_f16 v47, v47, -0.5, v32
	v_sub_f16_e32 v49, v51, v54
	ds_read2st64_b32 v[2:3], v107 offset0:14 offset1:21
	v_add_f16_e32 v29, v29, v53
	v_fma_f16 v50, v49, s5, v47
	v_sub_f16_e32 v51, v52, v53
	v_sub_f16_e32 v52, v33, v34
	;; [unrolled: 1-line block ×3, first 2 shown]
	v_fma_f16 v47, v49, s3, v47
	v_fma_f16 v50, v51, s6, v50
	v_add_f16_e32 v52, v52, v53
	v_fma_f16 v47, v51, s2, v47
	v_add_f16_e32 v44, v32, v33
	v_fma_f16 v50, v52, s4, v50
	v_fma_f16 v47, v52, s4, v47
	v_add_f16_e32 v52, v33, v36
	v_add_f16_e32 v44, v44, v34
	v_fma_f16 v32, v52, -0.5, v32
	v_add_f16_e32 v44, v44, v35
	v_fma_f16 v52, v51, s3, v32
	v_sub_f16_e32 v33, v34, v33
	v_sub_f16_e32 v34, v35, v36
	v_add_f16_e32 v35, v56, v38
	v_add_f16_e32 v44, v44, v36
	v_fma_f16 v52, v49, s6, v52
	v_add_f16_e32 v33, v33, v34
	v_fma_f16 v32, v51, s5, v32
	s_waitcnt lgkmcnt(0)
	v_fma_f16 v35, v35, -0.5, v2
	v_sub_f16_e32 v36, v37, v22
	v_fma_f16 v34, v33, s4, v52
	v_fma_f16 v32, v49, s2, v32
	;; [unrolled: 1-line block ×3, first 2 shown]
	v_sub_f16_e32 v51, v20, v39
	v_sub_f16_e32 v52, v55, v56
	;; [unrolled: 1-line block ×3, first 2 shown]
	v_fma_f16 v35, v36, s5, v35
	v_fma_f16 v49, v51, s2, v49
	v_add_f16_e32 v52, v52, v53
	v_fma_f16 v35, v51, s6, v35
	v_fma_f16 v49, v52, s4, v49
	;; [unrolled: 1-line block ×3, first 2 shown]
	v_add_f16_e32 v52, v55, v57
	v_lshrrev_b32_e32 v9, 16, v2
	v_fma_f16 v32, v33, s4, v32
	v_add_f16_e32 v33, v2, v55
	v_fma_f16 v2, v52, -0.5, v2
	v_add_f16_e32 v29, v29, v54
	v_fma_f16 v52, v51, s5, v2
	v_sub_f16_e32 v53, v56, v55
	v_sub_f16_e32 v54, v38, v57
	v_fma_f16 v2, v51, s3, v2
	v_fma_f16 v52, v36, s2, v52
	v_add_f16_e32 v53, v53, v54
	v_fma_f16 v2, v36, s6, v2
	v_add_f16_e32 v51, v20, v39
	v_add_f16_e32 v33, v33, v56
	v_fma_f16 v52, v53, s4, v52
	v_fma_f16 v2, v53, s4, v2
	v_fma_f16 v51, v51, -0.5, v9
	v_sub_f16_e32 v53, v55, v57
	v_add_f16_e32 v33, v33, v38
	v_fma_f16 v54, v53, s5, v51
	v_sub_f16_e32 v38, v56, v38
	v_sub_f16_e32 v55, v37, v20
	;; [unrolled: 1-line block ×3, first 2 shown]
	v_fma_f16 v51, v53, s3, v51
	v_add_f16_e32 v36, v9, v37
	v_fma_f16 v54, v38, s6, v54
	v_add_f16_e32 v55, v55, v56
	;; [unrolled: 2-line block ×3, first 2 shown]
	v_fma_f16 v54, v55, s4, v54
	v_fma_f16 v51, v55, s4, v51
	v_add_f16_e32 v55, v37, v22
	v_add_f16_e32 v36, v36, v39
	v_fma_f16 v9, v55, -0.5, v9
	v_add_f16_e32 v36, v36, v22
	v_fma_f16 v55, v38, s3, v9
	v_sub_f16_e32 v20, v20, v37
	v_sub_f16_e32 v22, v39, v22
	v_add_f16_e32 v37, v41, v42
	v_fma_f16 v55, v53, s6, v55
	v_add_f16_e32 v20, v20, v22
	v_fma_f16 v9, v38, s5, v9
	v_fma_f16 v37, v37, -0.5, v3
	v_sub_f16_e32 v38, v24, v23
	v_fma_f16 v22, v20, s4, v55
	v_fma_f16 v9, v53, s2, v9
	;; [unrolled: 1-line block ×3, first 2 shown]
	v_sub_f16_e32 v53, v21, v26
	v_sub_f16_e32 v55, v40, v41
	;; [unrolled: 1-line block ×3, first 2 shown]
	v_fma_f16 v37, v38, s5, v37
	v_fma_f16 v39, v53, s2, v39
	v_add_f16_e32 v55, v55, v56
	v_fma_f16 v37, v53, s6, v37
	v_fma_f16 v39, v55, s4, v39
	;; [unrolled: 1-line block ×3, first 2 shown]
	v_add_f16_e32 v55, v40, v43
	v_lshrrev_b32_e32 v5, 16, v3
	v_fma_f16 v9, v20, s4, v9
	v_add_f16_e32 v20, v3, v40
	v_fma_f16 v3, v55, -0.5, v3
	v_add_f16_e32 v20, v20, v41
	v_fma_f16 v55, v53, s5, v3
	v_fma_f16 v3, v53, s3, v3
	v_add_f16_e32 v53, v21, v26
	v_add_f16_e32 v33, v33, v57
	;; [unrolled: 1-line block ×3, first 2 shown]
	v_sub_f16_e32 v56, v41, v40
	v_sub_f16_e32 v57, v42, v43
	v_fma_f16 v53, v53, -0.5, v5
	v_sub_f16_e32 v40, v40, v43
	v_add_f16_e32 v20, v20, v43
	v_fma_f16 v55, v38, s2, v55
	v_add_f16_e32 v56, v56, v57
	v_fma_f16 v3, v38, s6, v3
	v_fma_f16 v43, v40, s5, v53
	v_sub_f16_e32 v41, v41, v42
	v_fma_f16 v55, v56, s4, v55
	v_fma_f16 v3, v56, s4, v3
	;; [unrolled: 1-line block ×3, first 2 shown]
	v_sub_f16_e32 v43, v24, v21
	v_sub_f16_e32 v56, v23, v26
	v_fma_f16 v53, v40, s3, v53
	v_add_f16_e32 v38, v5, v24
	v_add_f16_e32 v43, v43, v56
	v_fma_f16 v53, v41, s2, v53
	v_add_f16_e32 v38, v38, v21
	v_fma_f16 v42, v43, s4, v42
	v_fma_f16 v43, v43, s4, v53
	v_add_f16_e32 v53, v24, v23
	v_add_f16_e32 v38, v38, v26
	v_fma_f16 v5, v53, -0.5, v5
	v_add_f16_e32 v38, v38, v23
	v_fma_f16 v53, v41, s3, v5
	v_sub_f16_e32 v21, v21, v24
	v_sub_f16_e32 v23, v26, v23
	v_add_f16_e32 v24, v12, v13
	v_fma_f16 v7, v66, v68, -v7
	v_fma_f16 v53, v40, s6, v53
	v_add_f16_e32 v21, v21, v23
	v_fma_f16 v5, v41, s5, v5
	v_fma_f16 v24, v24, -0.5, v0
	v_sub_f16_e32 v26, v1, v10
	v_fma_f16 v23, v21, s4, v53
	v_fma_f16 v5, v40, s2, v5
	;; [unrolled: 1-line block ×3, first 2 shown]
	v_sub_f16_e32 v41, v6, v7
	v_sub_f16_e32 v53, v11, v12
	;; [unrolled: 1-line block ×3, first 2 shown]
	v_fma_f16 v24, v26, s5, v24
	v_fma_f16 v40, v41, s2, v40
	v_add_f16_e32 v53, v53, v56
	v_fma_f16 v24, v41, s6, v24
	v_fma_f16 v40, v53, s4, v40
	;; [unrolled: 1-line block ×3, first 2 shown]
	v_add_f16_e32 v53, v11, v16
	v_lshrrev_b32_e32 v4, 16, v0
	v_fma_f16 v5, v21, s4, v5
	v_add_f16_e32 v21, v0, v11
	v_fma_f16 v0, v53, -0.5, v0
	v_add_f16_e32 v21, v21, v12
	v_fma_f16 v53, v41, s5, v0
	v_fma_f16 v0, v41, s3, v0
	v_add_f16_e32 v41, v6, v7
	v_add_f16_e32 v21, v21, v13
	v_sub_f16_e32 v56, v12, v11
	v_sub_f16_e32 v57, v13, v16
	v_fma_f16 v41, v41, -0.5, v4
	v_sub_f16_e32 v11, v11, v16
	v_add_f16_e32 v21, v21, v16
	v_fma_f16 v53, v26, s2, v53
	v_add_f16_e32 v56, v56, v57
	v_fma_f16 v0, v26, s6, v0
	v_fma_f16 v16, v11, s5, v41
	v_sub_f16_e32 v12, v12, v13
	v_fma_f16 v53, v56, s4, v53
	v_fma_f16 v0, v56, s4, v0
	v_add_f16_e32 v26, v4, v1
	v_fma_f16 v13, v12, s6, v16
	v_sub_f16_e32 v16, v1, v6
	v_sub_f16_e32 v56, v10, v7
	v_fma_f16 v41, v11, s3, v41
	v_add_f16_e32 v26, v26, v6
	v_add_f16_e32 v16, v16, v56
	v_fma_f16 v41, v12, s2, v41
	v_add_f16_e32 v26, v26, v7
	v_fma_f16 v13, v16, s4, v13
	v_fma_f16 v16, v16, s4, v41
	v_add_f16_e32 v41, v1, v10
	v_sub_f16_e32 v1, v6, v1
	v_sub_f16_e32 v6, v7, v10
	v_pack_b32_f16 v7, v15, v45
	v_fma_f16 v4, v41, -0.5, v4
	ds_write_b32 v107, v7 offset:8960
	v_pack_b32_f16 v7, v17, v30
	v_fma_f16 v41, v12, s3, v4
	v_fma_f16 v4, v12, s5, v4
	ds_write_b32 v107, v7 offset:17920
	v_pack_b32_f16 v7, v18, v28
	v_fma_f16 v41, v11, s6, v41
	v_add_f16_e32 v1, v1, v6
	v_fma_f16 v4, v11, s2, v4
	ds_write_b32 v107, v7 offset:26880
	v_pack_b32_f16 v7, v14, v27
	v_fma_f16 v6, v1, s4, v41
	v_fma_f16 v1, v1, s4, v4
	v_pack_b32_f16 v4, v8, v25
	ds_write_b32 v107, v7 offset:35840
	v_pack_b32_f16 v7, v29, v44
	v_pack_b32_f16 v8, v19, v32
	;; [unrolled: 1-line block ×3, first 2 shown]
	v_add_f16_e32 v26, v26, v10
	ds_write2st64_b32 v107, v4, v7 offset1:7
	v_pack_b32_f16 v4, v46, v50
	v_pack_b32_f16 v10, v31, v47
	;; [unrolled: 1-line block ×3, first 2 shown]
	ds_write2st64_b32 v107, v8, v2 offset0:112 offset1:119
	v_pack_b32_f16 v2, v35, v51
	v_pack_b32_f16 v7, v48, v34
	;; [unrolled: 1-line block ×3, first 2 shown]
	ds_write2st64_b32 v107, v4, v12 offset0:42 offset1:49
	v_pack_b32_f16 v4, v52, v22
	ds_write2st64_b32 v107, v10, v2 offset0:147 offset1:154
	v_pack_b32_f16 v2, v20, v38
	v_pack_b32_f16 v3, v3, v5
	ds_write2st64_b32 v107, v7, v4 offset0:77 offset1:84
	ds_write2st64_b32 v107, v11, v2 offset0:14 offset1:21
	ds_write_b32 v107, v3 offset:32256
	v_pack_b32_f16 v3, v37, v43
	ds_write_b32 v107, v3 offset:41216
	v_pack_b32_f16 v3, v21, v26
	v_pack_b32_f16 v2, v39, v42
	;; [unrolled: 1-line block ×3, first 2 shown]
	ds_write_b32 v107, v3 offset:7168
	v_pack_b32_f16 v3, v40, v13
	v_pack_b32_f16 v0, v0, v1
	ds_write_b32 v107, v4 offset:23296
	ds_write2st64_b32 v107, v2, v3 offset0:56 offset1:63
	v_pack_b32_f16 v2, v53, v6
	ds_write_b32 v107, v0 offset:34048
	v_pack_b32_f16 v0, v24, v16
	ds_write_b32 v107, v2 offset:25088
	ds_write_b32 v107, v0 offset:43008
	s_waitcnt lgkmcnt(0)
	s_barrier
	buffer_load_dword v11, off, s[24:27], 0 offset:168 ; 4-byte Folded Reload
	ds_read2st64_b32 v[0:1], v107 offset1:7
	buffer_load_dword v3, off, s[24:27], 0 offset:160 ; 4-byte Folded Reload
	buffer_load_dword v4, off, s[24:27], 0 offset:164 ; 4-byte Folded Reload
	s_mov_b32 s6, 0xe434a9b1
	s_mov_b32 s7, 0x3f1767dc
	s_movk_i32 s17, 0x1ff
	s_waitcnt lgkmcnt(0)
	v_lshrrev_b32_e32 v7, 16, v0
	s_movk_i32 s14, 0xffe
	s_movk_i32 s15, 0x40f
	s_mov_b32 s16, 0x8000
	buffer_load_dword v15, off, s[24:27], 0 offset:156 ; 4-byte Folded Reload
	buffer_load_dword v17, off, s[24:27], 0 offset:152 ; 4-byte Folded Reload
	;; [unrolled: 1-line block ×4, first 2 shown]
	s_waitcnt vmcnt(6)
	v_mul_f16_sdwa v2, v11, v7 dst_sel:DWORD dst_unused:UNUSED_PAD src0_sel:WORD_1 src1_sel:DWORD
	v_fma_f16 v2, v11, v0, v2
	v_cvt_f32_f16_e32 v2, v2
	s_waitcnt vmcnt(5)
	v_mov_b32_e32 v6, v3
	s_waitcnt vmcnt(4)
	v_mad_u64_u32 v[4:5], s[2:3], s10, v6, 0
	v_cvt_f64_f32_e32 v[2:3], v2
	v_mul_f16_sdwa v0, v11, v0 dst_sel:DWORD dst_unused:UNUSED_PAD src0_sel:WORD_1 src1_sel:DWORD
	v_mad_u64_u32 v[5:6], s[2:3], s11, v6, v[5:6]
	v_mul_f64 v[2:3], v[2:3], s[6:7]
	v_fma_f16 v0, v11, v7, -v0
	v_cvt_f32_f16_e32 v0, v0
	v_lshlrev_b64 v[4:5], 2, v[4:5]
	v_and_or_b32 v2, v3, s17, v2
	v_cmp_ne_u32_e32 vcc, 0, v2
	v_cndmask_b32_e64 v2, 0, 1, vcc
	v_lshrrev_b32_e32 v6, 8, v3
	v_bfe_u32 v8, v3, 20, 11
	v_and_or_b32 v2, v6, s14, v2
	v_sub_u32_e32 v9, 0x3f1, v8
	v_or_b32_e32 v6, 0x1000, v2
	v_med3_i32 v9, v9, 0, 13
	v_lshrrev_b32_e32 v10, v9, v6
	v_lshlrev_b32_e32 v9, v9, v10
	v_cmp_ne_u32_e32 vcc, v9, v6
	v_cndmask_b32_e64 v6, 0, 1, vcc
	v_add_u32_e32 v9, 0xfffffc10, v8
	v_or_b32_e32 v6, v10, v6
	v_lshl_or_b32 v8, v9, 12, v2
	v_cmp_gt_i32_e32 vcc, 1, v9
	v_cndmask_b32_e32 v6, v8, v6, vcc
	v_and_b32_e32 v8, 7, v6
	v_cmp_lt_i32_e32 vcc, 5, v8
	v_cmp_eq_u32_e64 s[2:3], 3, v8
	v_lshrrev_b32_e32 v6, 2, v6
	s_or_b64 vcc, s[2:3], vcc
	v_addc_co_u32_e32 v10, vcc, 0, v6, vcc
	v_cvt_f64_f32_e32 v[6:7], v0
	v_mov_b32_e32 v8, 0x7c00
	v_cmp_gt_i32_e32 vcc, 31, v9
	v_cndmask_b32_e32 v0, v8, v10, vcc
	v_mul_f64 v[6:7], v[6:7], s[6:7]
	v_cmp_ne_u32_e32 vcc, 0, v2
	v_cndmask_b32_e64 v2, 0, 1, vcc
	v_lshl_or_b32 v2, v2, 9, v8
	v_cmp_eq_u32_e32 vcc, s15, v9
	v_cndmask_b32_e32 v0, v0, v2, vcc
	v_lshrrev_b32_e32 v2, 16, v3
	v_and_or_b32 v9, v2, s16, v0
	v_and_or_b32 v0, v7, s17, v6
	v_cmp_ne_u32_e32 vcc, 0, v0
	v_cndmask_b32_e64 v0, 0, 1, vcc
	v_lshrrev_b32_e32 v2, 8, v7
	v_bfe_u32 v3, v7, 20, 11
	v_and_or_b32 v0, v2, s14, v0
	v_sub_u32_e32 v6, 0x3f1, v3
	v_or_b32_e32 v2, 0x1000, v0
	v_med3_i32 v6, v6, 0, 13
	v_lshrrev_b32_e32 v10, v6, v2
	v_lshlrev_b32_e32 v6, v6, v10
	v_cmp_ne_u32_e32 vcc, v6, v2
	v_cndmask_b32_e64 v2, 0, 1, vcc
	v_add_u32_e32 v3, 0xfffffc10, v3
	v_or_b32_e32 v2, v10, v2
	v_lshl_or_b32 v6, v3, 12, v0
	v_cmp_gt_i32_e32 vcc, 1, v3
	v_cndmask_b32_e32 v2, v6, v2, vcc
	v_and_b32_e32 v6, 7, v2
	v_cmp_lt_i32_e32 vcc, 5, v6
	v_cmp_eq_u32_e64 s[2:3], 3, v6
	buffer_load_dword v6, off, s[24:27], 0 offset:4 ; 4-byte Folded Reload
	v_lshrrev_b32_e32 v2, 2, v2
	s_or_b64 vcc, s[2:3], vcc
	v_addc_co_u32_e32 v2, vcc, 0, v2, vcc
	v_cmp_gt_i32_e32 vcc, 31, v3
	v_cndmask_b32_e32 v2, v8, v2, vcc
	v_cmp_ne_u32_e32 vcc, 0, v0
	v_cndmask_b32_e64 v0, 0, 1, vcc
	v_lshl_or_b32 v0, v0, 9, v8
	v_cmp_eq_u32_e32 vcc, s15, v3
	v_add_u32_e32 v10, 0xc0, v107
	v_cndmask_b32_e32 v13, v2, v0, vcc
	ds_read2st64_b32 v[2:3], v10 offset0:43 offset1:50
	v_lshrrev_b32_e32 v14, 16, v7
	v_and_or_b32 v13, v14, s16, v13
	v_and_b32_e32 v9, 0xffff, v9
	v_lshl_or_b32 v9, v13, 16, v9
	v_mov_b32_e32 v13, s13
	v_add_co_u32_e32 v14, vcc, s12, v4
	v_addc_co_u32_e32 v13, vcc, v13, v5, vcc
	s_waitcnt vmcnt(0)
	v_mad_u64_u32 v[11:12], s[2:3], s8, v6, 0
	v_mov_b32_e32 v0, v12
	v_mad_u64_u32 v[6:7], s[2:3], s9, v6, v[0:1]
	s_waitcnt lgkmcnt(0)
	v_lshrrev_b32_e32 v0, 16, v2
	v_mul_f16_sdwa v7, v15, v0 dst_sel:DWORD dst_unused:UNUSED_PAD src0_sel:WORD_1 src1_sel:DWORD
	v_fma_f16 v7, v15, v2, v7
	v_cvt_f32_f16_e32 v7, v7
	v_mov_b32_e32 v12, v6
	v_lshlrev_b64 v[4:5], 2, v[11:12]
	v_mul_f16_sdwa v2, v15, v2 dst_sel:DWORD dst_unused:UNUSED_PAD src0_sel:WORD_1 src1_sel:DWORD
	v_cvt_f64_f32_e32 v[6:7], v7
	v_add_co_u32_e32 v12, vcc, v14, v4
	v_addc_co_u32_e32 v13, vcc, v13, v5, vcc
	v_mul_f64 v[6:7], v[6:7], s[6:7]
	global_store_dword v[12:13], v9, off
	v_fma_f16 v0, v15, v0, -v2
	v_cvt_f32_f16_e32 v0, v0
	v_and_or_b32 v4, v7, s17, v6
	v_cmp_ne_u32_e32 vcc, 0, v4
	v_cndmask_b32_e64 v4, 0, 1, vcc
	v_lshrrev_b32_e32 v5, 8, v7
	v_and_or_b32 v9, v5, s14, v4
	v_bfe_u32 v5, v7, 20, 11
	v_sub_u32_e32 v6, 0x3f1, v5
	v_or_b32_e32 v4, 0x1000, v9
	v_med3_i32 v6, v6, 0, 13
	v_lshrrev_b32_e32 v11, v6, v4
	v_lshlrev_b32_e32 v6, v6, v11
	v_cmp_ne_u32_e32 vcc, v6, v4
	v_cndmask_b32_e64 v4, 0, 1, vcc
	v_or_b32_e32 v4, v11, v4
	v_add_u32_e32 v11, 0xfffffc10, v5
	v_lshl_or_b32 v5, v11, 12, v9
	v_cmp_gt_i32_e32 vcc, 1, v11
	v_cndmask_b32_e32 v4, v5, v4, vcc
	v_and_b32_e32 v5, 7, v4
	v_cmp_lt_i32_e32 vcc, 5, v5
	v_cmp_eq_u32_e64 s[2:3], 3, v5
	v_lshrrev_b32_e32 v2, 2, v4
	v_cvt_f64_f32_e32 v[4:5], v0
	s_or_b64 vcc, s[2:3], vcc
	v_addc_co_u32_e32 v0, vcc, 0, v2, vcc
	v_mul_f64 v[5:6], v[4:5], s[6:7]
	v_cmp_gt_i32_e32 vcc, 31, v11
	v_cndmask_b32_e32 v0, v8, v0, vcc
	v_cmp_ne_u32_e32 vcc, 0, v9
	v_cndmask_b32_e64 v2, 0, 1, vcc
	v_lshl_or_b32 v2, v2, 9, v8
	v_cmp_eq_u32_e32 vcc, s15, v11
	v_cndmask_b32_e32 v0, v0, v2, vcc
	v_lshrrev_b32_e32 v2, 16, v7
	v_and_or_b32 v0, v2, s16, v0
	v_and_or_b32 v2, v6, s17, v5
	v_cmp_ne_u32_e32 vcc, 0, v2
	v_cndmask_b32_e64 v2, 0, 1, vcc
	v_lshrrev_b32_e32 v4, 8, v6
	v_bfe_u32 v5, v6, 20, 11
	v_and_or_b32 v2, v4, s14, v2
	v_sub_u32_e32 v7, 0x3f1, v5
	v_or_b32_e32 v4, 0x1000, v2
	v_med3_i32 v7, v7, 0, 13
	v_lshrrev_b32_e32 v9, v7, v4
	v_lshlrev_b32_e32 v7, v7, v9
	v_cmp_ne_u32_e32 vcc, v7, v4
	v_cndmask_b32_e64 v4, 0, 1, vcc
	v_add_u32_e32 v7, 0xfffffc10, v5
	v_or_b32_e32 v4, v9, v4
	v_lshl_or_b32 v5, v7, 12, v2
	v_cmp_gt_i32_e32 vcc, 1, v7
	v_cndmask_b32_e32 v4, v5, v4, vcc
	v_and_b32_e32 v5, 7, v4
	v_cmp_lt_i32_e32 vcc, 5, v5
	v_cmp_eq_u32_e64 s[2:3], 3, v5
	v_lshrrev_b32_e32 v4, 2, v4
	s_or_b64 vcc, s[2:3], vcc
	v_addc_co_u32_e32 v4, vcc, 0, v4, vcc
	v_cmp_gt_i32_e32 vcc, 31, v7
	v_add_u32_e32 v11, 0x80, v107
	v_cndmask_b32_e32 v9, v8, v4, vcc
	ds_read2st64_b32 v[4:5], v11 offset0:87 offset1:94
	v_cmp_ne_u32_e32 vcc, 0, v2
	v_cndmask_b32_e64 v2, 0, 1, vcc
	v_lshl_or_b32 v2, v2, 9, v8
	v_cmp_eq_u32_e32 vcc, s15, v7
	v_cndmask_b32_e32 v2, v9, v2, vcc
	v_lshrrev_b32_e32 v6, 16, v6
	s_waitcnt lgkmcnt(0)
	v_lshrrev_b32_e32 v16, 16, v4
	v_and_or_b32 v2, v6, s16, v2
	v_mul_f16_sdwa v6, v17, v16 dst_sel:DWORD dst_unused:UNUSED_PAD src0_sel:WORD_1 src1_sel:DWORD
	v_fma_f16 v6, v17, v4, v6
	v_cvt_f32_f16_e32 v6, v6
	s_mul_i32 s2, s9, 0xaf0
	s_mul_hi_u32 s3, s8, 0xaf0
	s_add_i32 s3, s3, s2
	v_cvt_f64_f32_e32 v[6:7], v6
	s_mul_i32 s2, s8, 0xaf0
	s_lshl_b64 s[10:11], s[2:3], 2
	v_and_b32_e32 v0, 0xffff, v0
	v_mul_f64 v[6:7], v[6:7], s[6:7]
	v_mov_b32_e32 v9, s11
	v_add_co_u32_e32 v14, vcc, s10, v12
	v_lshl_or_b32 v0, v2, 16, v0
	v_addc_co_u32_e32 v15, vcc, v13, v9, vcc
	global_store_dword v[14:15], v0, off
	v_and_or_b32 v0, v7, s17, v6
	v_cmp_ne_u32_e32 vcc, 0, v0
	v_cndmask_b32_e64 v0, 0, 1, vcc
	v_lshrrev_b32_e32 v2, 8, v7
	v_bfe_u32 v6, v7, 20, 11
	v_and_or_b32 v0, v2, s14, v0
	v_sub_u32_e32 v12, 0x3f1, v6
	v_or_b32_e32 v2, 0x1000, v0
	v_med3_i32 v12, v12, 0, 13
	v_lshrrev_b32_e32 v13, v12, v2
	v_lshlrev_b32_e32 v12, v12, v13
	v_mul_f16_sdwa v4, v17, v4 dst_sel:DWORD dst_unused:UNUSED_PAD src0_sel:WORD_1 src1_sel:DWORD
	v_cmp_ne_u32_e32 vcc, v12, v2
	v_fma_f16 v4, v17, v16, -v4
	v_cndmask_b32_e64 v2, 0, 1, vcc
	v_add_u32_e32 v6, 0xfffffc10, v6
	v_cvt_f32_f16_e32 v4, v4
	v_or_b32_e32 v2, v13, v2
	v_lshl_or_b32 v12, v6, 12, v0
	v_cmp_gt_i32_e32 vcc, 1, v6
	v_cndmask_b32_e32 v2, v12, v2, vcc
	v_and_b32_e32 v12, 7, v2
	v_cmp_lt_i32_e32 vcc, 5, v12
	v_cmp_eq_u32_e64 s[2:3], 3, v12
	v_cvt_f64_f32_e32 v[12:13], v4
	v_lshrrev_b32_e32 v2, 2, v2
	s_or_b64 vcc, s[2:3], vcc
	v_addc_co_u32_e32 v2, vcc, 0, v2, vcc
	v_mul_f64 v[12:13], v[12:13], s[6:7]
	v_cmp_gt_i32_e32 vcc, 31, v6
	v_cndmask_b32_e32 v2, v8, v2, vcc
	v_cmp_ne_u32_e32 vcc, 0, v0
	v_cndmask_b32_e64 v0, 0, 1, vcc
	v_lshl_or_b32 v0, v0, 9, v8
	v_cmp_eq_u32_e32 vcc, s15, v6
	v_cndmask_b32_e32 v0, v2, v0, vcc
	v_lshrrev_b32_e32 v2, 16, v7
	v_and_or_b32 v0, v2, s16, v0
	v_and_or_b32 v2, v13, s17, v12
	v_cmp_ne_u32_e32 vcc, 0, v2
	v_cndmask_b32_e64 v2, 0, 1, vcc
	v_lshrrev_b32_e32 v4, 8, v13
	v_bfe_u32 v6, v13, 20, 11
	v_and_or_b32 v2, v4, s14, v2
	v_sub_u32_e32 v7, 0x3f1, v6
	v_or_b32_e32 v4, 0x1000, v2
	v_med3_i32 v7, v7, 0, 13
	v_lshrrev_b32_e32 v12, v7, v4
	v_lshlrev_b32_e32 v7, v7, v12
	v_cmp_ne_u32_e32 vcc, v7, v4
	v_cndmask_b32_e64 v4, 0, 1, vcc
	v_add_u32_e32 v18, 0xfffffc10, v6
	v_or_b32_e32 v4, v12, v4
	v_lshl_or_b32 v6, v18, 12, v2
	v_cmp_gt_i32_e32 vcc, 1, v18
	v_cndmask_b32_e32 v4, v6, v4, vcc
	v_and_b32_e32 v6, 7, v4
	v_add_u32_e32 v12, 64, v107
	v_cmp_lt_i32_e32 vcc, 5, v6
	v_cmp_eq_u32_e64 s[2:3], 3, v6
	ds_read2st64_b32 v[6:7], v12 offset0:131 offset1:138
	v_lshrrev_b32_e32 v4, 2, v4
	s_or_b64 vcc, s[2:3], vcc
	v_addc_co_u32_e32 v4, vcc, 0, v4, vcc
	s_waitcnt lgkmcnt(0)
	v_lshrrev_b32_e32 v19, 16, v6
	v_mul_f16_sdwa v16, v20, v19 dst_sel:DWORD dst_unused:UNUSED_PAD src0_sel:WORD_1 src1_sel:DWORD
	v_fma_f16 v16, v20, v6, v16
	v_mul_f16_sdwa v6, v20, v6 dst_sel:DWORD dst_unused:UNUSED_PAD src0_sel:WORD_1 src1_sel:DWORD
	v_fma_f16 v6, v20, v19, -v6
	buffer_load_dword v20, off, s[24:27], 0 offset:144 ; 4-byte Folded Reload
	v_cvt_f32_f16_e32 v16, v16
	v_cmp_gt_i32_e32 vcc, 31, v18
	v_cndmask_b32_e32 v4, v8, v4, vcc
	v_cmp_ne_u32_e32 vcc, 0, v2
	v_cvt_f64_f32_e32 v[16:17], v16
	v_cndmask_b32_e64 v2, 0, 1, vcc
	v_lshl_or_b32 v2, v2, 9, v8
	v_cmp_eq_u32_e32 vcc, s15, v18
	v_mul_f64 v[16:17], v[16:17], s[6:7]
	v_cndmask_b32_e32 v2, v4, v2, vcc
	v_lshrrev_b32_e32 v4, 16, v13
	v_and_or_b32 v2, v4, s16, v2
	v_and_b32_e32 v0, 0xffff, v0
	v_add_co_u32_e32 v13, vcc, s10, v14
	v_lshl_or_b32 v0, v2, 16, v0
	v_addc_co_u32_e32 v14, vcc, v15, v9, vcc
	global_store_dword v[13:14], v0, off
	v_and_or_b32 v0, v17, s17, v16
	v_cmp_ne_u32_e32 vcc, 0, v0
	v_cndmask_b32_e64 v0, 0, 1, vcc
	v_lshrrev_b32_e32 v2, 8, v17
	v_bfe_u32 v4, v17, 20, 11
	v_and_or_b32 v0, v2, s14, v0
	v_sub_u32_e32 v15, 0x3f1, v4
	v_or_b32_e32 v2, 0x1000, v0
	v_med3_i32 v15, v15, 0, 13
	v_lshrrev_b32_e32 v16, v15, v2
	v_lshlrev_b32_e32 v15, v15, v16
	v_cmp_ne_u32_e32 vcc, v15, v2
	v_cndmask_b32_e64 v2, 0, 1, vcc
	v_add_u32_e32 v4, 0xfffffc10, v4
	v_cvt_f32_f16_e32 v6, v6
	v_or_b32_e32 v2, v16, v2
	v_lshl_or_b32 v15, v4, 12, v0
	v_cmp_gt_i32_e32 vcc, 1, v4
	v_cndmask_b32_e32 v2, v15, v2, vcc
	v_and_b32_e32 v15, 7, v2
	v_cmp_lt_i32_e32 vcc, 5, v15
	v_cmp_eq_u32_e64 s[2:3], 3, v15
	v_cvt_f64_f32_e32 v[15:16], v6
	v_lshrrev_b32_e32 v2, 2, v2
	s_or_b64 vcc, s[2:3], vcc
	v_addc_co_u32_e32 v2, vcc, 0, v2, vcc
	v_mul_f64 v[15:16], v[15:16], s[6:7]
	v_cmp_gt_i32_e32 vcc, 31, v4
	v_cndmask_b32_e32 v2, v8, v2, vcc
	v_cmp_ne_u32_e32 vcc, 0, v0
	v_cndmask_b32_e64 v0, 0, 1, vcc
	v_lshl_or_b32 v0, v0, 9, v8
	v_cmp_eq_u32_e32 vcc, s15, v4
	v_cndmask_b32_e32 v0, v2, v0, vcc
	v_lshrrev_b32_e32 v2, 16, v17
	v_and_or_b32 v0, v2, s16, v0
	v_and_or_b32 v2, v16, s17, v15
	v_cmp_ne_u32_e32 vcc, 0, v2
	v_cndmask_b32_e64 v2, 0, 1, vcc
	v_lshrrev_b32_e32 v4, 8, v16
	v_bfe_u32 v6, v16, 20, 11
	v_and_or_b32 v2, v4, s14, v2
	v_sub_u32_e32 v15, 0x3f1, v6
	v_or_b32_e32 v4, 0x1000, v2
	v_med3_i32 v15, v15, 0, 13
	v_lshrrev_b32_e32 v17, v15, v4
	v_lshlrev_b32_e32 v15, v15, v17
	v_cmp_ne_u32_e32 vcc, v15, v4
	v_cndmask_b32_e64 v4, 0, 1, vcc
	v_add_u32_e32 v6, 0xfffffc10, v6
	v_or_b32_e32 v4, v17, v4
	v_lshl_or_b32 v15, v6, 12, v2
	v_cmp_gt_i32_e32 vcc, 1, v6
	v_cndmask_b32_e32 v4, v15, v4, vcc
	v_and_b32_e32 v15, 7, v4
	v_lshrrev_b32_e32 v19, 16, v1
	v_cmp_lt_i32_e32 vcc, 5, v15
	v_cmp_eq_u32_e64 s[2:3], 3, v15
	v_lshrrev_b32_e32 v4, 2, v4
	s_waitcnt vmcnt(1)
	v_mul_f16_sdwa v15, v20, v19 dst_sel:DWORD dst_unused:UNUSED_PAD src0_sel:WORD_1 src1_sel:DWORD
	v_fma_f16 v15, v20, v1, v15
	v_mul_f16_sdwa v1, v20, v1 dst_sel:DWORD dst_unused:UNUSED_PAD src0_sel:WORD_1 src1_sel:DWORD
	v_fma_f16 v1, v20, v19, -v1
	buffer_load_dword v19, off, s[24:27], 0 offset:140 ; 4-byte Folded Reload
	v_cvt_f32_f16_e32 v15, v15
	s_or_b64 vcc, s[2:3], vcc
	v_addc_co_u32_e32 v4, vcc, 0, v4, vcc
	v_cmp_gt_i32_e32 vcc, 31, v6
	v_cvt_f64_f32_e32 v[17:18], v15
	v_cndmask_b32_e32 v4, v8, v4, vcc
	v_cmp_ne_u32_e32 vcc, 0, v2
	v_cndmask_b32_e64 v2, 0, 1, vcc
	v_lshl_or_b32 v2, v2, 9, v8
	v_cmp_eq_u32_e32 vcc, s15, v6
	v_cndmask_b32_e32 v2, v4, v2, vcc
	v_lshrrev_b32_e32 v4, 16, v16
	v_mul_f64 v[15:16], v[17:18], s[6:7]
	v_and_or_b32 v2, v4, s16, v2
	v_and_b32_e32 v0, 0xffff, v0
	v_add_co_u32_e32 v17, vcc, s10, v13
	v_lshl_or_b32 v0, v2, 16, v0
	v_addc_co_u32_e32 v18, vcc, v14, v9, vcc
	global_store_dword v[17:18], v0, off
	v_and_or_b32 v0, v16, s17, v15
	v_cmp_ne_u32_e32 vcc, 0, v0
	v_cndmask_b32_e64 v0, 0, 1, vcc
	v_lshrrev_b32_e32 v2, 8, v16
	v_bfe_u32 v4, v16, 20, 11
	v_and_or_b32 v2, v2, s14, v0
	v_sub_u32_e32 v6, 0x3f1, v4
	v_or_b32_e32 v0, 0x1000, v2
	v_med3_i32 v6, v6, 0, 13
	v_lshrrev_b32_e32 v13, v6, v0
	v_lshlrev_b32_e32 v6, v6, v13
	v_cmp_ne_u32_e32 vcc, v6, v0
	v_cndmask_b32_e64 v0, 0, 1, vcc
	v_add_u32_e32 v4, 0xfffffc10, v4
	v_cvt_f32_f16_e32 v1, v1
	v_or_b32_e32 v0, v13, v0
	v_lshl_or_b32 v6, v4, 12, v2
	v_cmp_gt_i32_e32 vcc, 1, v4
	v_cndmask_b32_e32 v0, v6, v0, vcc
	v_and_b32_e32 v6, 7, v0
	v_cmp_lt_i32_e32 vcc, 5, v6
	v_cmp_eq_u32_e64 s[2:3], 3, v6
	v_lshrrev_b32_e32 v6, 2, v0
	v_cvt_f64_f32_e32 v[0:1], v1
	s_or_b64 vcc, s[2:3], vcc
	v_addc_co_u32_e32 v6, vcc, 0, v6, vcc
	v_mul_f64 v[0:1], v[0:1], s[6:7]
	v_cmp_gt_i32_e32 vcc, 31, v4
	v_cndmask_b32_e32 v6, v8, v6, vcc
	v_cmp_ne_u32_e32 vcc, 0, v2
	v_cndmask_b32_e64 v2, 0, 1, vcc
	v_lshl_or_b32 v2, v2, 9, v8
	v_cmp_eq_u32_e32 vcc, s15, v4
	v_cndmask_b32_e32 v2, v6, v2, vcc
	v_and_or_b32 v0, v1, s17, v0
	v_lshrrev_b32_e32 v4, 16, v16
	v_cmp_ne_u32_e32 vcc, 0, v0
	v_and_or_b32 v2, v4, s16, v2
	v_cndmask_b32_e64 v0, 0, 1, vcc
	v_lshrrev_b32_e32 v4, 8, v1
	v_bfe_u32 v6, v1, 20, 11
	v_and_or_b32 v0, v4, s14, v0
	v_sub_u32_e32 v13, 0x3f1, v6
	v_or_b32_e32 v4, 0x1000, v0
	v_med3_i32 v13, v13, 0, 13
	v_lshrrev_b32_e32 v14, v13, v4
	v_lshlrev_b32_e32 v13, v13, v14
	v_cmp_ne_u32_e32 vcc, v13, v4
	v_cndmask_b32_e64 v4, 0, 1, vcc
	v_add_u32_e32 v6, 0xfffffc10, v6
	v_or_b32_e32 v4, v14, v4
	v_lshl_or_b32 v13, v6, 12, v0
	v_cmp_gt_i32_e32 vcc, 1, v6
	v_cndmask_b32_e32 v4, v13, v4, vcc
	v_and_b32_e32 v13, 7, v4
	v_cmp_lt_i32_e32 vcc, 5, v13
	v_cmp_eq_u32_e64 s[2:3], 3, v13
	v_lshrrev_b32_e32 v4, 2, v4
	s_or_b64 vcc, s[2:3], vcc
	v_addc_co_u32_e32 v4, vcc, 0, v4, vcc
	v_cmp_gt_i32_e32 vcc, 31, v6
	s_mul_hi_u32 s3, s8, 0xffffe0f0
	v_cndmask_b32_e32 v4, v8, v4, vcc
	v_cmp_ne_u32_e32 vcc, 0, v0
	s_mul_i32 s2, s9, 0xffffe0f0
	s_sub_i32 s3, s3, s8
	v_cndmask_b32_e64 v0, 0, 1, vcc
	s_add_i32 s3, s3, s2
	s_mul_i32 s2, s8, 0xffffe0f0
	v_lshl_or_b32 v0, v0, 9, v8
	v_cmp_eq_u32_e32 vcc, s15, v6
	s_lshl_b64 s[4:5], s[2:3], 2
	v_cndmask_b32_e32 v0, v4, v0, vcc
	v_lshrrev_b32_e32 v1, 16, v1
	v_lshrrev_b32_e32 v6, 16, v3
	v_mov_b32_e32 v13, s5
	v_add_co_u32_e32 v14, vcc, s4, v17
	v_and_or_b32 v4, v1, s16, v0
	v_addc_co_u32_e32 v15, vcc, v18, v13, vcc
	buffer_load_dword v18, off, s[24:27], 0 offset:136 ; 4-byte Folded Reload
	s_waitcnt vmcnt(2)
	v_mul_f16_sdwa v0, v19, v6 dst_sel:DWORD dst_unused:UNUSED_PAD src0_sel:WORD_1 src1_sel:DWORD
	v_fma_f16 v0, v19, v3, v0
	v_cvt_f32_f16_e32 v0, v0
	v_and_b32_e32 v2, 0xffff, v2
	v_lshl_or_b32 v2, v4, 16, v2
	global_store_dword v[14:15], v2, off
	v_cvt_f64_f32_e32 v[0:1], v0
	v_mul_f16_sdwa v3, v19, v3 dst_sel:DWORD dst_unused:UNUSED_PAD src0_sel:WORD_1 src1_sel:DWORD
	v_fma_f16 v3, v19, v6, -v3
	v_cvt_f32_f16_e32 v3, v3
	v_mul_f64 v[0:1], v[0:1], s[6:7]
	buffer_load_dword v19, off, s[24:27], 0 offset:124 ; 4-byte Folded Reload
	buffer_load_dword v20, off, s[24:27], 0 offset:112 ; 4-byte Folded Reload
	v_and_or_b32 v0, v1, s17, v0
	v_cmp_ne_u32_e32 vcc, 0, v0
	v_cndmask_b32_e64 v0, 0, 1, vcc
	v_lshrrev_b32_e32 v2, 8, v1
	v_bfe_u32 v4, v1, 20, 11
	v_and_or_b32 v0, v2, s14, v0
	v_sub_u32_e32 v16, 0x3f1, v4
	v_or_b32_e32 v2, 0x1000, v0
	v_med3_i32 v16, v16, 0, 13
	v_lshrrev_b32_e32 v17, v16, v2
	v_lshlrev_b32_e32 v16, v16, v17
	v_cmp_ne_u32_e32 vcc, v16, v2
	v_cndmask_b32_e64 v2, 0, 1, vcc
	v_add_u32_e32 v4, 0xfffffc10, v4
	v_or_b32_e32 v2, v17, v2
	v_lshl_or_b32 v16, v4, 12, v0
	v_cmp_gt_i32_e32 vcc, 1, v4
	v_cndmask_b32_e32 v2, v16, v2, vcc
	v_and_b32_e32 v16, 7, v2
	v_lshrrev_b32_e32 v6, 2, v2
	v_cvt_f64_f32_e32 v[2:3], v3
	v_cmp_lt_i32_e32 vcc, 5, v16
	v_cmp_eq_u32_e64 s[2:3], 3, v16
	s_or_b64 vcc, s[2:3], vcc
	v_mul_f64 v[2:3], v[2:3], s[6:7]
	v_addc_co_u32_e32 v6, vcc, 0, v6, vcc
	v_cmp_gt_i32_e32 vcc, 31, v4
	v_cndmask_b32_e32 v6, v8, v6, vcc
	v_cmp_ne_u32_e32 vcc, 0, v0
	v_cndmask_b32_e64 v0, 0, 1, vcc
	v_lshl_or_b32 v0, v0, 9, v8
	v_cmp_eq_u32_e32 vcc, s15, v4
	v_cndmask_b32_e32 v0, v6, v0, vcc
	v_lshrrev_b32_e32 v1, 16, v1
	v_and_or_b32 v4, v1, s16, v0
	v_and_or_b32 v0, v3, s17, v2
	v_cmp_ne_u32_e32 vcc, 0, v0
	v_cndmask_b32_e64 v0, 0, 1, vcc
	v_lshrrev_b32_e32 v1, 8, v3
	v_bfe_u32 v2, v3, 20, 11
	v_and_or_b32 v0, v1, s14, v0
	v_sub_u32_e32 v6, 0x3f1, v2
	v_or_b32_e32 v1, 0x1000, v0
	v_med3_i32 v6, v6, 0, 13
	v_lshrrev_b32_e32 v16, v6, v1
	v_lshlrev_b32_e32 v6, v6, v16
	v_cmp_ne_u32_e32 vcc, v6, v1
	v_cndmask_b32_e64 v1, 0, 1, vcc
	v_add_u32_e32 v2, 0xfffffc10, v2
	v_or_b32_e32 v1, v16, v1
	v_lshl_or_b32 v6, v2, 12, v0
	v_cmp_gt_i32_e32 vcc, 1, v2
	v_cndmask_b32_e32 v1, v6, v1, vcc
	v_and_b32_e32 v6, 7, v1
	v_cmp_lt_i32_e32 vcc, 5, v6
	v_cmp_eq_u32_e64 s[2:3], 3, v6
	v_lshrrev_b32_e32 v1, 2, v1
	s_or_b64 vcc, s[2:3], vcc
	v_addc_co_u32_e32 v1, vcc, 0, v1, vcc
	v_cmp_gt_i32_e32 vcc, 31, v2
	v_cndmask_b32_e32 v6, v8, v1, vcc
	v_cmp_ne_u32_e32 vcc, 0, v0
	v_cndmask_b32_e64 v0, 0, 1, vcc
	v_lshl_or_b32 v17, v0, 9, v8
	v_cmp_eq_u32_e32 vcc, s15, v2
	v_cndmask_b32_e32 v2, v6, v17, vcc
	buffer_load_dword v17, off, s[24:27], 0 offset:132 ; 4-byte Folded Reload
	v_lshrrev_b32_e32 v16, 16, v5
	s_waitcnt vmcnt(4)
	v_mul_f16_sdwa v1, v18, v16 dst_sel:DWORD dst_unused:UNUSED_PAD src0_sel:WORD_1 src1_sel:DWORD
	v_fma_f16 v1, v18, v5, v1
	v_cvt_f32_f16_e32 v1, v1
	v_lshrrev_b32_e32 v3, 16, v3
	v_and_or_b32 v2, v3, s16, v2
	v_and_b32_e32 v3, 0xffff, v4
	v_cvt_f64_f32_e32 v[0:1], v1
	v_lshl_or_b32 v4, v2, 16, v3
	v_add_co_u32_e32 v2, vcc, s10, v14
	v_mul_f64 v[0:1], v[0:1], s[6:7]
	v_addc_co_u32_e32 v3, vcc, v15, v9, vcc
	global_store_dword v[2:3], v4, off
	v_mul_f16_sdwa v5, v18, v5 dst_sel:DWORD dst_unused:UNUSED_PAD src0_sel:WORD_1 src1_sel:DWORD
	v_fma_f16 v5, v18, v16, -v5
	buffer_load_dword v18, off, s[24:27], 0 offset:128 ; 4-byte Folded Reload
	v_cvt_f32_f16_e32 v5, v5
	v_and_or_b32 v0, v1, s17, v0
	v_cmp_ne_u32_e32 vcc, 0, v0
	v_cndmask_b32_e64 v0, 0, 1, vcc
	v_lshrrev_b32_e32 v4, 8, v1
	v_bfe_u32 v6, v1, 20, 11
	v_and_or_b32 v0, v4, s14, v0
	v_sub_u32_e32 v14, 0x3f1, v6
	v_or_b32_e32 v4, 0x1000, v0
	v_med3_i32 v14, v14, 0, 13
	v_lshrrev_b32_e32 v15, v14, v4
	v_lshlrev_b32_e32 v14, v14, v15
	v_cmp_ne_u32_e32 vcc, v14, v4
	v_cndmask_b32_e64 v4, 0, 1, vcc
	v_add_u32_e32 v6, 0xfffffc10, v6
	v_or_b32_e32 v4, v15, v4
	v_lshl_or_b32 v14, v6, 12, v0
	v_cmp_gt_i32_e32 vcc, 1, v6
	v_cndmask_b32_e32 v4, v14, v4, vcc
	v_and_b32_e32 v14, 7, v4
	v_cmp_lt_i32_e32 vcc, 5, v14
	v_cmp_eq_u32_e64 s[2:3], 3, v14
	v_lshrrev_b32_e32 v14, 2, v4
	v_cvt_f64_f32_e32 v[4:5], v5
	s_or_b64 vcc, s[2:3], vcc
	v_addc_co_u32_e32 v14, vcc, 0, v14, vcc
	v_mul_f64 v[4:5], v[4:5], s[6:7]
	v_cmp_gt_i32_e32 vcc, 31, v6
	v_cndmask_b32_e32 v14, v8, v14, vcc
	v_cmp_ne_u32_e32 vcc, 0, v0
	v_cndmask_b32_e64 v0, 0, 1, vcc
	v_lshl_or_b32 v0, v0, 9, v8
	v_cmp_eq_u32_e32 vcc, s15, v6
	v_cndmask_b32_e32 v0, v14, v0, vcc
	v_lshrrev_b32_e32 v1, 16, v1
	v_and_or_b32 v6, v1, s16, v0
	v_and_or_b32 v0, v5, s17, v4
	v_cmp_ne_u32_e32 vcc, 0, v0
	v_cndmask_b32_e64 v0, 0, 1, vcc
	v_lshrrev_b32_e32 v1, 8, v5
	v_bfe_u32 v4, v5, 20, 11
	v_and_or_b32 v0, v1, s14, v0
	v_sub_u32_e32 v14, 0x3f1, v4
	v_or_b32_e32 v1, 0x1000, v0
	v_med3_i32 v14, v14, 0, 13
	v_lshrrev_b32_e32 v15, v14, v1
	v_lshlrev_b32_e32 v14, v14, v15
	v_cmp_ne_u32_e32 vcc, v14, v1
	v_cndmask_b32_e64 v1, 0, 1, vcc
	v_add_u32_e32 v4, 0xfffffc10, v4
	v_or_b32_e32 v1, v15, v1
	v_lshl_or_b32 v14, v4, 12, v0
	v_cmp_gt_i32_e32 vcc, 1, v4
	v_cndmask_b32_e32 v1, v14, v1, vcc
	v_and_b32_e32 v14, 7, v1
	v_cmp_lt_i32_e32 vcc, 5, v14
	v_cmp_eq_u32_e64 s[2:3], 3, v14
	v_lshrrev_b32_e32 v1, 2, v1
	s_or_b64 vcc, s[2:3], vcc
	v_addc_co_u32_e32 v1, vcc, 0, v1, vcc
	v_cmp_gt_i32_e32 vcc, 31, v4
	v_lshrrev_b32_e32 v15, 16, v7
	v_cndmask_b32_e32 v14, v8, v1, vcc
	s_waitcnt vmcnt(2)
	v_mul_f16_sdwa v1, v17, v15 dst_sel:DWORD dst_unused:UNUSED_PAD src0_sel:WORD_1 src1_sel:DWORD
	v_fma_f16 v1, v17, v7, v1
	v_cvt_f32_f16_e32 v1, v1
	v_cmp_ne_u32_e32 vcc, 0, v0
	v_cndmask_b32_e64 v0, 0, 1, vcc
	v_lshl_or_b32 v16, v0, 9, v8
	v_cvt_f64_f32_e32 v[0:1], v1
	v_cmp_eq_u32_e32 vcc, s15, v4
	v_cndmask_b32_e32 v4, v14, v16, vcc
	v_lshrrev_b32_e32 v5, 16, v5
	v_mul_f64 v[0:1], v[0:1], s[6:7]
	v_add_co_u32_e32 v2, vcc, s10, v2
	v_and_or_b32 v4, v5, s16, v4
	v_and_b32_e32 v5, 0xffff, v6
	v_addc_co_u32_e32 v3, vcc, v3, v9, vcc
	v_lshl_or_b32 v4, v4, 16, v5
	v_and_or_b32 v0, v1, s17, v0
	v_cmp_ne_u32_e32 vcc, 0, v0
	global_store_dword v[2:3], v4, off
	v_cndmask_b32_e64 v0, 0, 1, vcc
	v_lshrrev_b32_e32 v4, 8, v1
	v_bfe_u32 v5, v1, 20, 11
	v_and_or_b32 v0, v4, s14, v0
	v_sub_u32_e32 v6, 0x3f1, v5
	v_or_b32_e32 v4, 0x1000, v0
	v_med3_i32 v6, v6, 0, 13
	v_lshrrev_b32_e32 v14, v6, v4
	v_lshlrev_b32_e32 v6, v6, v14
	v_mul_f16_sdwa v7, v17, v7 dst_sel:DWORD dst_unused:UNUSED_PAD src0_sel:WORD_1 src1_sel:DWORD
	v_cmp_ne_u32_e32 vcc, v6, v4
	v_fma_f16 v7, v17, v15, -v7
	v_cndmask_b32_e64 v4, 0, 1, vcc
	v_add_u32_e32 v6, 0xfffffc10, v5
	v_cvt_f32_f16_e32 v7, v7
	v_or_b32_e32 v4, v14, v4
	v_lshl_or_b32 v5, v6, 12, v0
	v_cmp_gt_i32_e32 vcc, 1, v6
	v_cndmask_b32_e32 v4, v5, v4, vcc
	v_and_b32_e32 v5, 7, v4
	v_cmp_lt_i32_e32 vcc, 5, v5
	v_cmp_eq_u32_e64 s[2:3], 3, v5
	v_lshrrev_b32_e32 v14, 2, v4
	v_cvt_f64_f32_e32 v[4:5], v7
	s_or_b64 vcc, s[2:3], vcc
	v_addc_co_u32_e32 v7, vcc, 0, v14, vcc
	v_mul_f64 v[4:5], v[4:5], s[6:7]
	v_cmp_gt_i32_e32 vcc, 31, v6
	v_cndmask_b32_e32 v7, v8, v7, vcc
	v_cmp_ne_u32_e32 vcc, 0, v0
	v_cndmask_b32_e64 v0, 0, 1, vcc
	v_lshl_or_b32 v0, v0, 9, v8
	v_cmp_eq_u32_e32 vcc, s15, v6
	v_cndmask_b32_e32 v0, v7, v0, vcc
	v_lshrrev_b32_e32 v1, 16, v1
	v_and_or_b32 v14, v1, s16, v0
	v_and_or_b32 v0, v5, s17, v4
	v_cmp_ne_u32_e32 vcc, 0, v0
	v_cndmask_b32_e64 v0, 0, 1, vcc
	v_lshrrev_b32_e32 v1, 8, v5
	v_and_or_b32 v4, v1, s14, v0
	v_bfe_u32 v1, v5, 20, 11
	v_sub_u32_e32 v6, 0x3f1, v1
	v_or_b32_e32 v0, 0x1000, v4
	v_med3_i32 v6, v6, 0, 13
	v_lshrrev_b32_e32 v7, v6, v0
	v_lshlrev_b32_e32 v6, v6, v7
	v_cmp_ne_u32_e32 vcc, v6, v0
	v_cndmask_b32_e64 v0, 0, 1, vcc
	v_add_u32_e32 v15, 0xfffffc10, v1
	v_or_b32_e32 v0, v7, v0
	v_lshl_or_b32 v1, v15, 12, v4
	v_cmp_gt_i32_e32 vcc, 1, v15
	v_cndmask_b32_e32 v0, v1, v0, vcc
	v_and_b32_e32 v1, 7, v0
	v_cmp_lt_i32_e32 vcc, 5, v1
	v_cmp_eq_u32_e64 s[2:3], 3, v1
	v_lshrrev_b32_e32 v6, 2, v0
	ds_read2st64_b32 v[0:1], v107 offset0:14 offset1:21
	s_or_b64 vcc, s[2:3], vcc
	v_addc_co_u32_e32 v6, vcc, 0, v6, vcc
	v_cmp_gt_i32_e32 vcc, 31, v15
	s_waitcnt lgkmcnt(0)
	v_lshrrev_b32_e32 v17, 16, v0
	v_cndmask_b32_e32 v16, v8, v6, vcc
	s_waitcnt vmcnt(1)
	v_mul_f16_sdwa v6, v18, v17 dst_sel:DWORD dst_unused:UNUSED_PAD src0_sel:WORD_1 src1_sel:DWORD
	v_fma_f16 v6, v18, v0, v6
	v_cvt_f32_f16_e32 v6, v6
	v_cmp_ne_u32_e32 vcc, 0, v4
	v_cndmask_b32_e64 v4, 0, 1, vcc
	v_lshl_or_b32 v4, v4, 9, v8
	v_cvt_f64_f32_e32 v[6:7], v6
	v_cmp_eq_u32_e32 vcc, s15, v15
	v_cndmask_b32_e32 v4, v16, v4, vcc
	v_lshrrev_b32_e32 v5, 16, v5
	v_and_or_b32 v15, v5, s16, v4
	v_mul_f64 v[4:5], v[6:7], s[6:7]
	v_and_b32_e32 v6, 0xffff, v14
	v_lshl_or_b32 v14, v15, 16, v6
	v_add_co_u32_e32 v6, vcc, s10, v2
	v_addc_co_u32_e32 v7, vcc, v3, v9, vcc
	global_store_dword v[6:7], v14, off
	v_and_or_b32 v2, v5, s17, v4
	v_cmp_ne_u32_e32 vcc, 0, v2
	v_cndmask_b32_e64 v2, 0, 1, vcc
	v_lshrrev_b32_e32 v3, 8, v5
	v_and_or_b32 v14, v3, s14, v2
	v_bfe_u32 v3, v5, 20, 11
	v_sub_u32_e32 v4, 0x3f1, v3
	v_or_b32_e32 v2, 0x1000, v14
	v_med3_i32 v4, v4, 0, 13
	v_lshrrev_b32_e32 v15, v4, v2
	v_lshlrev_b32_e32 v4, v4, v15
	v_cmp_ne_u32_e32 vcc, v4, v2
	v_mul_f16_sdwa v0, v18, v0 dst_sel:DWORD dst_unused:UNUSED_PAD src0_sel:WORD_1 src1_sel:DWORD
	v_cndmask_b32_e64 v2, 0, 1, vcc
	v_fma_f16 v0, v18, v17, -v0
	v_or_b32_e32 v2, v15, v2
	v_add_u32_e32 v15, 0xfffffc10, v3
	v_cvt_f32_f16_e32 v0, v0
	v_lshl_or_b32 v3, v15, 12, v14
	v_cmp_gt_i32_e32 vcc, 1, v15
	v_cndmask_b32_e32 v2, v3, v2, vcc
	v_and_b32_e32 v3, 7, v2
	v_cmp_lt_i32_e32 vcc, 5, v3
	v_cmp_eq_u32_e64 s[2:3], 3, v3
	v_lshrrev_b32_e32 v4, 2, v2
	v_cvt_f64_f32_e32 v[2:3], v0
	s_or_b64 vcc, s[2:3], vcc
	v_addc_co_u32_e32 v0, vcc, 0, v4, vcc
	v_mul_f64 v[3:4], v[2:3], s[6:7]
	v_cmp_gt_i32_e32 vcc, 31, v15
	v_cndmask_b32_e32 v0, v8, v0, vcc
	v_cmp_ne_u32_e32 vcc, 0, v14
	v_cndmask_b32_e64 v2, 0, 1, vcc
	v_lshl_or_b32 v2, v2, 9, v8
	v_cmp_eq_u32_e32 vcc, s15, v15
	v_cndmask_b32_e32 v0, v0, v2, vcc
	v_lshrrev_b32_e32 v2, 16, v5
	v_and_or_b32 v0, v2, s16, v0
	v_and_or_b32 v2, v4, s17, v3
	v_cmp_ne_u32_e32 vcc, 0, v2
	v_cndmask_b32_e64 v2, 0, 1, vcc
	v_lshrrev_b32_e32 v3, 8, v4
	v_and_or_b32 v5, v3, s14, v2
	v_bfe_u32 v3, v4, 20, 11
	v_sub_u32_e32 v14, 0x3f1, v3
	v_or_b32_e32 v2, 0x1000, v5
	v_med3_i32 v14, v14, 0, 13
	v_lshrrev_b32_e32 v15, v14, v2
	v_lshlrev_b32_e32 v14, v14, v15
	v_cmp_ne_u32_e32 vcc, v14, v2
	v_cndmask_b32_e64 v2, 0, 1, vcc
	v_add_u32_e32 v16, 0xfffffc10, v3
	v_or_b32_e32 v2, v15, v2
	v_lshl_or_b32 v3, v16, 12, v5
	v_cmp_gt_i32_e32 vcc, 1, v16
	v_cndmask_b32_e32 v2, v3, v2, vcc
	v_and_b32_e32 v3, 7, v2
	v_cmp_lt_i32_e32 vcc, 5, v3
	v_cmp_eq_u32_e64 s[2:3], 3, v3
	v_lshrrev_b32_e32 v14, 2, v2
	ds_read2st64_b32 v[2:3], v10 offset0:57 offset1:64
	s_or_b64 vcc, s[2:3], vcc
	v_addc_co_u32_e32 v14, vcc, 0, v14, vcc
	v_cmp_gt_i32_e32 vcc, 31, v16
	s_waitcnt lgkmcnt(0)
	v_lshrrev_b32_e32 v18, 16, v2
	v_cndmask_b32_e32 v17, v8, v14, vcc
	v_mul_f16_sdwa v14, v19, v18 dst_sel:DWORD dst_unused:UNUSED_PAD src0_sel:WORD_1 src1_sel:DWORD
	v_fma_f16 v14, v19, v2, v14
	v_cvt_f32_f16_e32 v14, v14
	v_cmp_ne_u32_e32 vcc, 0, v5
	v_cndmask_b32_e64 v5, 0, 1, vcc
	v_lshl_or_b32 v5, v5, 9, v8
	v_cvt_f64_f32_e32 v[14:15], v14
	v_cmp_eq_u32_e32 vcc, s15, v16
	v_cndmask_b32_e32 v5, v17, v5, vcc
	v_lshrrev_b32_e32 v4, 16, v4
	v_and_or_b32 v16, v4, s16, v5
	v_mul_f64 v[4:5], v[14:15], s[6:7]
	v_and_b32_e32 v0, 0xffff, v0
	v_add_co_u32_e32 v6, vcc, s4, v6
	v_lshl_or_b32 v0, v16, 16, v0
	v_addc_co_u32_e32 v7, vcc, v7, v13, vcc
	global_store_dword v[6:7], v0, off
	v_and_or_b32 v0, v5, s17, v4
	v_cmp_ne_u32_e32 vcc, 0, v0
	v_cndmask_b32_e64 v0, 0, 1, vcc
	v_lshrrev_b32_e32 v4, 8, v5
	v_bfe_u32 v14, v5, 20, 11
	v_and_or_b32 v0, v4, s14, v0
	v_sub_u32_e32 v15, 0x3f1, v14
	v_or_b32_e32 v4, 0x1000, v0
	v_med3_i32 v15, v15, 0, 13
	v_lshrrev_b32_e32 v16, v15, v4
	v_lshlrev_b32_e32 v15, v15, v16
	v_cmp_ne_u32_e32 vcc, v15, v4
	v_mul_f16_sdwa v2, v19, v2 dst_sel:DWORD dst_unused:UNUSED_PAD src0_sel:WORD_1 src1_sel:DWORD
	v_cndmask_b32_e64 v4, 0, 1, vcc
	v_fma_f16 v2, v19, v18, -v2
	v_or_b32_e32 v4, v16, v4
	v_add_u32_e32 v16, 0xfffffc10, v14
	v_cvt_f32_f16_e32 v2, v2
	v_lshl_or_b32 v14, v16, 12, v0
	v_cmp_gt_i32_e32 vcc, 1, v16
	v_cndmask_b32_e32 v4, v14, v4, vcc
	v_and_b32_e32 v14, 7, v4
	v_cmp_lt_i32_e32 vcc, 5, v14
	v_cmp_eq_u32_e64 s[2:3], 3, v14
	v_cvt_f64_f32_e32 v[14:15], v2
	v_lshrrev_b32_e32 v4, 2, v4
	s_or_b64 vcc, s[2:3], vcc
	v_addc_co_u32_e32 v2, vcc, 0, v4, vcc
	v_mul_f64 v[14:15], v[14:15], s[6:7]
	v_cmp_gt_i32_e32 vcc, 31, v16
	v_cndmask_b32_e32 v2, v8, v2, vcc
	v_cmp_ne_u32_e32 vcc, 0, v0
	v_cndmask_b32_e64 v0, 0, 1, vcc
	v_lshl_or_b32 v0, v0, 9, v8
	v_cmp_eq_u32_e32 vcc, s15, v16
	v_cndmask_b32_e32 v0, v2, v0, vcc
	v_lshrrev_b32_e32 v2, 16, v5
	v_and_or_b32 v0, v2, s16, v0
	v_and_or_b32 v2, v15, s17, v14
	v_cmp_ne_u32_e32 vcc, 0, v2
	v_cndmask_b32_e64 v2, 0, 1, vcc
	v_lshrrev_b32_e32 v4, 8, v15
	v_bfe_u32 v5, v15, 20, 11
	v_and_or_b32 v2, v4, s14, v2
	v_sub_u32_e32 v14, 0x3f1, v5
	v_or_b32_e32 v4, 0x1000, v2
	v_med3_i32 v14, v14, 0, 13
	v_lshrrev_b32_e32 v16, v14, v4
	v_lshlrev_b32_e32 v14, v14, v16
	v_cmp_ne_u32_e32 vcc, v14, v4
	v_cndmask_b32_e64 v4, 0, 1, vcc
	v_add_u32_e32 v14, 0xfffffc10, v5
	v_or_b32_e32 v4, v16, v4
	v_lshl_or_b32 v5, v14, 12, v2
	v_cmp_gt_i32_e32 vcc, 1, v14
	v_cndmask_b32_e32 v4, v5, v4, vcc
	v_and_b32_e32 v5, 7, v4
	v_cmp_lt_i32_e32 vcc, 5, v5
	v_cmp_eq_u32_e64 s[2:3], 3, v5
	v_lshrrev_b32_e32 v16, 2, v4
	ds_read2st64_b32 v[4:5], v11 offset0:101 offset1:108
	s_or_b64 vcc, s[2:3], vcc
	v_addc_co_u32_e32 v16, vcc, 0, v16, vcc
	v_cmp_gt_i32_e32 vcc, 31, v14
	s_waitcnt lgkmcnt(0)
	v_lshrrev_b32_e32 v19, 16, v4
	v_cndmask_b32_e32 v18, v8, v16, vcc
	v_mul_f16_sdwa v16, v20, v19 dst_sel:DWORD dst_unused:UNUSED_PAD src0_sel:WORD_1 src1_sel:DWORD
	v_fma_f16 v16, v20, v4, v16
	v_cvt_f32_f16_e32 v16, v16
	v_cmp_ne_u32_e32 vcc, 0, v2
	v_cndmask_b32_e64 v2, 0, 1, vcc
	v_lshl_or_b32 v2, v2, 9, v8
	v_cvt_f64_f32_e32 v[16:17], v16
	v_cmp_eq_u32_e32 vcc, s15, v14
	v_cndmask_b32_e32 v2, v18, v2, vcc
	v_lshrrev_b32_e32 v14, 16, v15
	v_and_or_b32 v2, v14, s16, v2
	v_mul_f64 v[14:15], v[16:17], s[6:7]
	v_and_b32_e32 v0, 0xffff, v0
	v_add_co_u32_e32 v16, vcc, s10, v6
	v_lshl_or_b32 v0, v2, 16, v0
	v_addc_co_u32_e32 v17, vcc, v7, v9, vcc
	global_store_dword v[16:17], v0, off
	v_and_or_b32 v0, v15, s17, v14
	v_cmp_ne_u32_e32 vcc, 0, v0
	v_cndmask_b32_e64 v0, 0, 1, vcc
	v_lshrrev_b32_e32 v2, 8, v15
	v_bfe_u32 v6, v15, 20, 11
	v_and_or_b32 v0, v2, s14, v0
	v_sub_u32_e32 v7, 0x3f1, v6
	v_or_b32_e32 v2, 0x1000, v0
	v_med3_i32 v7, v7, 0, 13
	v_lshrrev_b32_e32 v14, v7, v2
	v_lshlrev_b32_e32 v7, v7, v14
	v_cmp_ne_u32_e32 vcc, v7, v2
	v_mul_f16_sdwa v4, v20, v4 dst_sel:DWORD dst_unused:UNUSED_PAD src0_sel:WORD_1 src1_sel:DWORD
	v_cndmask_b32_e64 v2, 0, 1, vcc
	v_fma_f16 v4, v20, v19, -v4
	v_or_b32_e32 v2, v14, v2
	v_add_u32_e32 v14, 0xfffffc10, v6
	v_cvt_f32_f16_e32 v4, v4
	v_lshl_or_b32 v6, v14, 12, v0
	v_cmp_gt_i32_e32 vcc, 1, v14
	v_cndmask_b32_e32 v2, v6, v2, vcc
	v_and_b32_e32 v6, 7, v2
	v_cmp_lt_i32_e32 vcc, 5, v6
	v_cmp_eq_u32_e64 s[2:3], 3, v6
	v_cvt_f64_f32_e32 v[6:7], v4
	v_lshrrev_b32_e32 v2, 2, v2
	s_or_b64 vcc, s[2:3], vcc
	v_addc_co_u32_e32 v2, vcc, 0, v2, vcc
	v_mul_f64 v[18:19], v[6:7], s[6:7]
	v_cmp_gt_i32_e32 vcc, 31, v14
	v_cndmask_b32_e32 v2, v8, v2, vcc
	v_cmp_ne_u32_e32 vcc, 0, v0
	v_cndmask_b32_e64 v0, 0, 1, vcc
	v_lshl_or_b32 v0, v0, 9, v8
	v_cmp_eq_u32_e32 vcc, s15, v14
	v_cndmask_b32_e32 v0, v2, v0, vcc
	v_lshrrev_b32_e32 v2, 16, v15
	v_and_or_b32 v0, v2, s16, v0
	v_and_or_b32 v2, v19, s17, v18
	v_cmp_ne_u32_e32 vcc, 0, v2
	v_cndmask_b32_e64 v2, 0, 1, vcc
	v_lshrrev_b32_e32 v4, 8, v19
	v_bfe_u32 v6, v19, 20, 11
	v_and_or_b32 v2, v4, s14, v2
	v_sub_u32_e32 v7, 0x3f1, v6
	v_or_b32_e32 v4, 0x1000, v2
	v_med3_i32 v7, v7, 0, 13
	v_lshrrev_b32_e32 v14, v7, v4
	v_lshlrev_b32_e32 v7, v7, v14
	v_cmp_ne_u32_e32 vcc, v7, v4
	v_cndmask_b32_e64 v4, 0, 1, vcc
	v_add_u32_e32 v18, 0xfffffc10, v6
	v_or_b32_e32 v4, v14, v4
	v_lshl_or_b32 v6, v18, 12, v2
	v_cmp_gt_i32_e32 vcc, 1, v18
	v_cndmask_b32_e32 v4, v6, v4, vcc
	v_and_b32_e32 v6, 7, v4
	v_cmp_lt_i32_e32 vcc, 5, v6
	v_cmp_eq_u32_e64 s[2:3], 3, v6
	ds_read2st64_b32 v[6:7], v12 offset0:145 offset1:152
	v_lshrrev_b32_e32 v4, 2, v4
	s_or_b64 vcc, s[2:3], vcc
	v_addc_co_u32_e32 v4, vcc, 0, v4, vcc
	s_waitcnt lgkmcnt(0)
	v_lshrrev_b32_e32 v20, 16, v6
	v_mul_f16_sdwa v14, v21, v20 dst_sel:DWORD dst_unused:UNUSED_PAD src0_sel:WORD_1 src1_sel:DWORD
	v_fma_f16 v14, v21, v6, v14
	v_cvt_f32_f16_e32 v14, v14
	v_mul_f16_sdwa v6, v21, v6 dst_sel:DWORD dst_unused:UNUSED_PAD src0_sel:WORD_1 src1_sel:DWORD
	v_fma_f16 v6, v21, v20, -v6
	buffer_load_dword v20, off, s[24:27], 0 offset:116 ; 4-byte Folded Reload
	v_cvt_f64_f32_e32 v[14:15], v14
	v_cmp_gt_i32_e32 vcc, 31, v18
	v_cndmask_b32_e32 v4, v8, v4, vcc
	v_cmp_ne_u32_e32 vcc, 0, v2
	v_mul_f64 v[14:15], v[14:15], s[6:7]
	v_cndmask_b32_e64 v2, 0, 1, vcc
	v_lshl_or_b32 v2, v2, 9, v8
	v_cmp_eq_u32_e32 vcc, s15, v18
	v_cndmask_b32_e32 v2, v4, v2, vcc
	v_lshrrev_b32_e32 v4, 16, v19
	v_and_or_b32 v2, v4, s16, v2
	v_and_b32_e32 v0, 0xffff, v0
	v_add_co_u32_e32 v16, vcc, s10, v16
	v_lshl_or_b32 v0, v2, 16, v0
	v_addc_co_u32_e32 v17, vcc, v17, v9, vcc
	global_store_dword v[16:17], v0, off
	v_and_or_b32 v0, v15, s17, v14
	v_cmp_ne_u32_e32 vcc, 0, v0
	v_cndmask_b32_e64 v0, 0, 1, vcc
	v_lshrrev_b32_e32 v2, 8, v15
	v_bfe_u32 v4, v15, 20, 11
	v_and_or_b32 v0, v2, s14, v0
	v_sub_u32_e32 v14, 0x3f1, v4
	v_or_b32_e32 v2, 0x1000, v0
	v_med3_i32 v14, v14, 0, 13
	v_lshrrev_b32_e32 v18, v14, v2
	v_cvt_f32_f16_e32 v6, v6
	v_lshlrev_b32_e32 v14, v14, v18
	v_cmp_ne_u32_e32 vcc, v14, v2
	v_cndmask_b32_e64 v2, 0, 1, vcc
	v_or_b32_e32 v2, v18, v2
	v_add_u32_e32 v4, 0xfffffc10, v4
	v_cvt_f64_f32_e32 v[18:19], v6
	v_lshl_or_b32 v14, v4, 12, v0
	v_cmp_gt_i32_e32 vcc, 1, v4
	v_cndmask_b32_e32 v2, v14, v2, vcc
	v_and_b32_e32 v14, 7, v2
	v_cmp_lt_i32_e32 vcc, 5, v14
	v_cmp_eq_u32_e64 s[2:3], 3, v14
	v_mul_f64 v[18:19], v[18:19], s[6:7]
	v_lshrrev_b32_e32 v2, 2, v2
	s_or_b64 vcc, s[2:3], vcc
	v_addc_co_u32_e32 v2, vcc, 0, v2, vcc
	v_cmp_gt_i32_e32 vcc, 31, v4
	v_cndmask_b32_e32 v2, v8, v2, vcc
	v_cmp_ne_u32_e32 vcc, 0, v0
	v_cndmask_b32_e64 v0, 0, 1, vcc
	v_lshl_or_b32 v0, v0, 9, v8
	v_cmp_eq_u32_e32 vcc, s15, v4
	v_cndmask_b32_e32 v0, v2, v0, vcc
	v_lshrrev_b32_e32 v2, 16, v15
	v_and_or_b32 v0, v2, s16, v0
	v_and_or_b32 v2, v19, s17, v18
	v_cmp_ne_u32_e32 vcc, 0, v2
	v_cndmask_b32_e64 v2, 0, 1, vcc
	v_lshrrev_b32_e32 v4, 8, v19
	v_bfe_u32 v6, v19, 20, 11
	v_and_or_b32 v2, v4, s14, v2
	v_sub_u32_e32 v14, 0x3f1, v6
	v_or_b32_e32 v4, 0x1000, v2
	v_med3_i32 v14, v14, 0, 13
	v_lshrrev_b32_e32 v15, v14, v4
	v_lshlrev_b32_e32 v14, v14, v15
	v_cmp_ne_u32_e32 vcc, v14, v4
	v_cndmask_b32_e64 v4, 0, 1, vcc
	v_add_u32_e32 v6, 0xfffffc10, v6
	v_or_b32_e32 v4, v15, v4
	v_lshl_or_b32 v14, v6, 12, v2
	v_cmp_gt_i32_e32 vcc, 1, v6
	v_cndmask_b32_e32 v4, v14, v4, vcc
	v_and_b32_e32 v14, 7, v4
	v_cmp_lt_i32_e32 vcc, 5, v14
	v_cmp_eq_u32_e64 s[2:3], 3, v14
	v_lshrrev_b32_e32 v4, 2, v4
	s_or_b64 vcc, s[2:3], vcc
	v_addc_co_u32_e32 v4, vcc, 0, v4, vcc
	v_cmp_gt_i32_e32 vcc, 31, v6
	v_cndmask_b32_e32 v4, v8, v4, vcc
	v_cmp_ne_u32_e32 vcc, 0, v2
	v_cndmask_b32_e64 v2, 0, 1, vcc
	v_lshl_or_b32 v2, v2, 9, v8
	v_cmp_eq_u32_e32 vcc, s15, v6
	v_cndmask_b32_e32 v2, v4, v2, vcc
	v_lshrrev_b32_e32 v4, 16, v19
	buffer_load_dword v19, off, s[24:27], 0 offset:108 ; 4-byte Folded Reload
	v_lshrrev_b32_e32 v18, 16, v1
	s_waitcnt vmcnt(2)
	v_mul_f16_sdwa v14, v20, v18 dst_sel:DWORD dst_unused:UNUSED_PAD src0_sel:WORD_1 src1_sel:DWORD
	v_fma_f16 v14, v20, v1, v14
	v_cvt_f32_f16_e32 v14, v14
	v_and_or_b32 v2, v4, s16, v2
	v_and_b32_e32 v0, 0xffff, v0
	v_add_co_u32_e32 v16, vcc, s10, v16
	v_cvt_f64_f32_e32 v[14:15], v14
	v_lshl_or_b32 v0, v2, 16, v0
	v_addc_co_u32_e32 v17, vcc, v17, v9, vcc
	v_mul_f64 v[14:15], v[14:15], s[6:7]
	global_store_dword v[16:17], v0, off
	v_mul_f16_sdwa v1, v20, v1 dst_sel:DWORD dst_unused:UNUSED_PAD src0_sel:WORD_1 src1_sel:DWORD
	v_fma_f16 v1, v20, v18, -v1
	v_cvt_f32_f16_e32 v1, v1
	v_lshrrev_b32_e32 v18, 16, v3
	v_and_or_b32 v0, v15, s17, v14
	v_cmp_ne_u32_e32 vcc, 0, v0
	v_cndmask_b32_e64 v0, 0, 1, vcc
	v_lshrrev_b32_e32 v2, 8, v15
	v_bfe_u32 v4, v15, 20, 11
	v_and_or_b32 v2, v2, s14, v0
	v_sub_u32_e32 v6, 0x3f1, v4
	v_or_b32_e32 v0, 0x1000, v2
	v_med3_i32 v6, v6, 0, 13
	v_lshrrev_b32_e32 v14, v6, v0
	v_lshlrev_b32_e32 v6, v6, v14
	v_cmp_ne_u32_e32 vcc, v6, v0
	v_cndmask_b32_e64 v0, 0, 1, vcc
	v_add_u32_e32 v4, 0xfffffc10, v4
	v_or_b32_e32 v0, v14, v0
	v_lshl_or_b32 v6, v4, 12, v2
	v_cmp_gt_i32_e32 vcc, 1, v4
	v_cndmask_b32_e32 v0, v6, v0, vcc
	v_and_b32_e32 v6, 7, v0
	v_cmp_lt_i32_e32 vcc, 5, v6
	v_cmp_eq_u32_e64 s[2:3], 3, v6
	v_lshrrev_b32_e32 v6, 2, v0
	v_cvt_f64_f32_e32 v[0:1], v1
	s_or_b64 vcc, s[2:3], vcc
	v_addc_co_u32_e32 v6, vcc, 0, v6, vcc
	v_mul_f64 v[0:1], v[0:1], s[6:7]
	v_cmp_gt_i32_e32 vcc, 31, v4
	v_cndmask_b32_e32 v6, v8, v6, vcc
	v_cmp_ne_u32_e32 vcc, 0, v2
	v_cndmask_b32_e64 v2, 0, 1, vcc
	v_lshl_or_b32 v2, v2, 9, v8
	v_cmp_eq_u32_e32 vcc, s15, v4
	v_cndmask_b32_e32 v2, v6, v2, vcc
	v_and_or_b32 v0, v1, s17, v0
	v_lshrrev_b32_e32 v4, 16, v15
	v_cmp_ne_u32_e32 vcc, 0, v0
	v_and_or_b32 v2, v4, s16, v2
	v_cndmask_b32_e64 v0, 0, 1, vcc
	v_lshrrev_b32_e32 v4, 8, v1
	v_bfe_u32 v6, v1, 20, 11
	v_and_or_b32 v0, v4, s14, v0
	v_sub_u32_e32 v14, 0x3f1, v6
	v_or_b32_e32 v4, 0x1000, v0
	v_med3_i32 v14, v14, 0, 13
	v_lshrrev_b32_e32 v15, v14, v4
	v_lshlrev_b32_e32 v14, v14, v15
	v_cmp_ne_u32_e32 vcc, v14, v4
	v_cndmask_b32_e64 v4, 0, 1, vcc
	v_add_u32_e32 v6, 0xfffffc10, v6
	v_or_b32_e32 v4, v15, v4
	v_lshl_or_b32 v14, v6, 12, v0
	v_cmp_gt_i32_e32 vcc, 1, v6
	v_cndmask_b32_e32 v4, v14, v4, vcc
	v_and_b32_e32 v14, 7, v4
	v_cmp_lt_i32_e32 vcc, 5, v14
	v_cmp_eq_u32_e64 s[2:3], 3, v14
	v_lshrrev_b32_e32 v4, 2, v4
	s_or_b64 vcc, s[2:3], vcc
	s_waitcnt vmcnt(1)
	v_mul_f16_sdwa v14, v19, v18 dst_sel:DWORD dst_unused:UNUSED_PAD src0_sel:WORD_1 src1_sel:DWORD
	v_fma_f16 v14, v19, v3, v14
	v_cvt_f32_f16_e32 v14, v14
	v_mul_f16_sdwa v3, v19, v3 dst_sel:DWORD dst_unused:UNUSED_PAD src0_sel:WORD_1 src1_sel:DWORD
	v_fma_f16 v3, v19, v18, -v3
	buffer_load_dword v18, off, s[24:27], 0 offset:104 ; 4-byte Folded Reload
	v_addc_co_u32_e32 v4, vcc, 0, v4, vcc
	v_cmp_gt_i32_e32 vcc, 31, v6
	v_cndmask_b32_e32 v4, v8, v4, vcc
	v_cmp_ne_u32_e32 vcc, 0, v0
	v_cvt_f64_f32_e32 v[14:15], v14
	v_cndmask_b32_e64 v0, 0, 1, vcc
	v_lshl_or_b32 v0, v0, 9, v8
	v_cmp_eq_u32_e32 vcc, s15, v6
	v_cndmask_b32_e32 v0, v4, v0, vcc
	v_lshrrev_b32_e32 v1, 16, v1
	v_and_or_b32 v4, v1, s16, v0
	v_mul_f64 v[0:1], v[14:15], s[6:7]
	v_add_co_u32_e32 v14, vcc, s4, v16
	v_and_b32_e32 v2, 0xffff, v2
	v_addc_co_u32_e32 v15, vcc, v17, v13, vcc
	v_lshl_or_b32 v2, v4, 16, v2
	global_store_dword v[14:15], v2, off
	v_and_or_b32 v0, v1, s17, v0
	v_cmp_ne_u32_e32 vcc, 0, v0
	v_cndmask_b32_e64 v0, 0, 1, vcc
	v_lshrrev_b32_e32 v2, 8, v1
	v_bfe_u32 v4, v1, 20, 11
	v_and_or_b32 v0, v2, s14, v0
	v_sub_u32_e32 v6, 0x3f1, v4
	v_or_b32_e32 v2, 0x1000, v0
	v_med3_i32 v6, v6, 0, 13
	v_lshrrev_b32_e32 v16, v6, v2
	v_lshlrev_b32_e32 v6, v6, v16
	v_cmp_ne_u32_e32 vcc, v6, v2
	v_cndmask_b32_e64 v2, 0, 1, vcc
	v_add_u32_e32 v4, 0xfffffc10, v4
	v_cvt_f32_f16_e32 v3, v3
	v_or_b32_e32 v2, v16, v2
	v_lshl_or_b32 v6, v4, 12, v0
	v_cmp_gt_i32_e32 vcc, 1, v4
	v_cndmask_b32_e32 v2, v6, v2, vcc
	v_and_b32_e32 v6, 7, v2
	v_cmp_lt_i32_e32 vcc, 5, v6
	v_cmp_eq_u32_e64 s[2:3], 3, v6
	v_lshrrev_b32_e32 v6, 2, v2
	v_cvt_f64_f32_e32 v[2:3], v3
	s_or_b64 vcc, s[2:3], vcc
	v_addc_co_u32_e32 v6, vcc, 0, v6, vcc
	v_mul_f64 v[2:3], v[2:3], s[6:7]
	v_cmp_gt_i32_e32 vcc, 31, v4
	v_cndmask_b32_e32 v6, v8, v6, vcc
	v_cmp_ne_u32_e32 vcc, 0, v0
	v_cndmask_b32_e64 v0, 0, 1, vcc
	v_lshl_or_b32 v0, v0, 9, v8
	v_cmp_eq_u32_e32 vcc, s15, v4
	v_cndmask_b32_e32 v0, v6, v0, vcc
	v_lshrrev_b32_e32 v1, 16, v1
	v_and_or_b32 v4, v1, s16, v0
	v_and_or_b32 v0, v3, s17, v2
	v_cmp_ne_u32_e32 vcc, 0, v0
	v_cndmask_b32_e64 v0, 0, 1, vcc
	v_lshrrev_b32_e32 v1, 8, v3
	v_bfe_u32 v2, v3, 20, 11
	v_and_or_b32 v0, v1, s14, v0
	v_sub_u32_e32 v6, 0x3f1, v2
	v_or_b32_e32 v1, 0x1000, v0
	v_med3_i32 v6, v6, 0, 13
	v_lshrrev_b32_e32 v16, v6, v1
	v_lshlrev_b32_e32 v6, v6, v16
	v_cmp_ne_u32_e32 vcc, v6, v1
	v_cndmask_b32_e64 v1, 0, 1, vcc
	v_add_u32_e32 v2, 0xfffffc10, v2
	v_or_b32_e32 v1, v16, v1
	v_lshl_or_b32 v6, v2, 12, v0
	v_cmp_gt_i32_e32 vcc, 1, v2
	v_cndmask_b32_e32 v1, v6, v1, vcc
	v_and_b32_e32 v6, 7, v1
	v_cmp_lt_i32_e32 vcc, 5, v6
	v_cmp_eq_u32_e64 s[2:3], 3, v6
	v_lshrrev_b32_e32 v1, 2, v1
	s_or_b64 vcc, s[2:3], vcc
	v_addc_co_u32_e32 v1, vcc, 0, v1, vcc
	v_cmp_gt_i32_e32 vcc, 31, v2
	v_cndmask_b32_e32 v6, v8, v1, vcc
	v_cmp_ne_u32_e32 vcc, 0, v0
	v_cndmask_b32_e64 v0, 0, 1, vcc
	v_lshl_or_b32 v17, v0, 9, v8
	v_cmp_eq_u32_e32 vcc, s15, v2
	v_cndmask_b32_e32 v2, v6, v17, vcc
	buffer_load_dword v17, off, s[24:27], 0 offset:100 ; 4-byte Folded Reload
	v_lshrrev_b32_e32 v16, 16, v5
	s_waitcnt vmcnt(2)
	v_mul_f16_sdwa v1, v18, v16 dst_sel:DWORD dst_unused:UNUSED_PAD src0_sel:WORD_1 src1_sel:DWORD
	v_fma_f16 v1, v18, v5, v1
	v_cvt_f32_f16_e32 v1, v1
	v_lshrrev_b32_e32 v3, 16, v3
	v_and_or_b32 v2, v3, s16, v2
	v_and_b32_e32 v3, 0xffff, v4
	v_cvt_f64_f32_e32 v[0:1], v1
	v_lshl_or_b32 v4, v2, 16, v3
	v_add_co_u32_e32 v2, vcc, s10, v14
	v_mul_f64 v[0:1], v[0:1], s[6:7]
	v_addc_co_u32_e32 v3, vcc, v15, v9, vcc
	global_store_dword v[2:3], v4, off
	v_mul_f16_sdwa v5, v18, v5 dst_sel:DWORD dst_unused:UNUSED_PAD src0_sel:WORD_1 src1_sel:DWORD
	v_fma_f16 v5, v18, v16, -v5
	buffer_load_dword v18, off, s[24:27], 0 offset:96 ; 4-byte Folded Reload
	v_cvt_f32_f16_e32 v5, v5
	v_and_or_b32 v0, v1, s17, v0
	v_cmp_ne_u32_e32 vcc, 0, v0
	v_cndmask_b32_e64 v0, 0, 1, vcc
	v_lshrrev_b32_e32 v4, 8, v1
	v_bfe_u32 v6, v1, 20, 11
	v_and_or_b32 v0, v4, s14, v0
	v_sub_u32_e32 v14, 0x3f1, v6
	v_or_b32_e32 v4, 0x1000, v0
	v_med3_i32 v14, v14, 0, 13
	v_lshrrev_b32_e32 v15, v14, v4
	v_lshlrev_b32_e32 v14, v14, v15
	v_cmp_ne_u32_e32 vcc, v14, v4
	v_cndmask_b32_e64 v4, 0, 1, vcc
	v_add_u32_e32 v6, 0xfffffc10, v6
	v_or_b32_e32 v4, v15, v4
	v_lshl_or_b32 v14, v6, 12, v0
	v_cmp_gt_i32_e32 vcc, 1, v6
	v_cndmask_b32_e32 v4, v14, v4, vcc
	v_and_b32_e32 v14, 7, v4
	v_cmp_lt_i32_e32 vcc, 5, v14
	v_cmp_eq_u32_e64 s[2:3], 3, v14
	v_lshrrev_b32_e32 v14, 2, v4
	v_cvt_f64_f32_e32 v[4:5], v5
	s_or_b64 vcc, s[2:3], vcc
	v_addc_co_u32_e32 v14, vcc, 0, v14, vcc
	v_mul_f64 v[4:5], v[4:5], s[6:7]
	v_cmp_gt_i32_e32 vcc, 31, v6
	v_cndmask_b32_e32 v14, v8, v14, vcc
	v_cmp_ne_u32_e32 vcc, 0, v0
	v_cndmask_b32_e64 v0, 0, 1, vcc
	v_lshl_or_b32 v0, v0, 9, v8
	v_cmp_eq_u32_e32 vcc, s15, v6
	v_cndmask_b32_e32 v0, v14, v0, vcc
	v_lshrrev_b32_e32 v1, 16, v1
	v_and_or_b32 v6, v1, s16, v0
	v_and_or_b32 v0, v5, s17, v4
	v_cmp_ne_u32_e32 vcc, 0, v0
	v_cndmask_b32_e64 v0, 0, 1, vcc
	v_lshrrev_b32_e32 v1, 8, v5
	v_bfe_u32 v4, v5, 20, 11
	v_and_or_b32 v0, v1, s14, v0
	v_sub_u32_e32 v14, 0x3f1, v4
	v_or_b32_e32 v1, 0x1000, v0
	v_med3_i32 v14, v14, 0, 13
	v_lshrrev_b32_e32 v15, v14, v1
	v_lshlrev_b32_e32 v14, v14, v15
	v_cmp_ne_u32_e32 vcc, v14, v1
	v_cndmask_b32_e64 v1, 0, 1, vcc
	v_add_u32_e32 v4, 0xfffffc10, v4
	v_or_b32_e32 v1, v15, v1
	v_lshl_or_b32 v14, v4, 12, v0
	v_cmp_gt_i32_e32 vcc, 1, v4
	v_cndmask_b32_e32 v1, v14, v1, vcc
	v_and_b32_e32 v14, 7, v1
	v_cmp_lt_i32_e32 vcc, 5, v14
	v_cmp_eq_u32_e64 s[2:3], 3, v14
	v_lshrrev_b32_e32 v1, 2, v1
	s_or_b64 vcc, s[2:3], vcc
	v_addc_co_u32_e32 v1, vcc, 0, v1, vcc
	v_cmp_gt_i32_e32 vcc, 31, v4
	v_lshrrev_b32_e32 v15, 16, v7
	v_cndmask_b32_e32 v14, v8, v1, vcc
	s_waitcnt vmcnt(2)
	v_mul_f16_sdwa v1, v17, v15 dst_sel:DWORD dst_unused:UNUSED_PAD src0_sel:WORD_1 src1_sel:DWORD
	v_fma_f16 v1, v17, v7, v1
	v_cvt_f32_f16_e32 v1, v1
	v_cmp_ne_u32_e32 vcc, 0, v0
	v_cndmask_b32_e64 v0, 0, 1, vcc
	v_lshl_or_b32 v16, v0, 9, v8
	v_cvt_f64_f32_e32 v[0:1], v1
	v_cmp_eq_u32_e32 vcc, s15, v4
	v_cndmask_b32_e32 v4, v14, v16, vcc
	v_lshrrev_b32_e32 v5, 16, v5
	v_mul_f64 v[0:1], v[0:1], s[6:7]
	v_add_co_u32_e32 v2, vcc, s10, v2
	v_and_or_b32 v4, v5, s16, v4
	v_and_b32_e32 v5, 0xffff, v6
	v_addc_co_u32_e32 v3, vcc, v3, v9, vcc
	v_lshl_or_b32 v4, v4, 16, v5
	v_and_or_b32 v0, v1, s17, v0
	v_cmp_ne_u32_e32 vcc, 0, v0
	global_store_dword v[2:3], v4, off
	v_cndmask_b32_e64 v0, 0, 1, vcc
	v_lshrrev_b32_e32 v4, 8, v1
	v_bfe_u32 v5, v1, 20, 11
	v_and_or_b32 v0, v4, s14, v0
	v_sub_u32_e32 v6, 0x3f1, v5
	v_or_b32_e32 v4, 0x1000, v0
	v_med3_i32 v6, v6, 0, 13
	v_lshrrev_b32_e32 v14, v6, v4
	v_lshlrev_b32_e32 v6, v6, v14
	v_mul_f16_sdwa v7, v17, v7 dst_sel:DWORD dst_unused:UNUSED_PAD src0_sel:WORD_1 src1_sel:DWORD
	v_cmp_ne_u32_e32 vcc, v6, v4
	v_fma_f16 v7, v17, v15, -v7
	v_cndmask_b32_e64 v4, 0, 1, vcc
	v_add_u32_e32 v6, 0xfffffc10, v5
	v_cvt_f32_f16_e32 v7, v7
	v_or_b32_e32 v4, v14, v4
	v_lshl_or_b32 v5, v6, 12, v0
	v_cmp_gt_i32_e32 vcc, 1, v6
	v_cndmask_b32_e32 v4, v5, v4, vcc
	v_and_b32_e32 v5, 7, v4
	v_cmp_lt_i32_e32 vcc, 5, v5
	v_cmp_eq_u32_e64 s[2:3], 3, v5
	v_lshrrev_b32_e32 v14, 2, v4
	v_cvt_f64_f32_e32 v[4:5], v7
	s_or_b64 vcc, s[2:3], vcc
	v_addc_co_u32_e32 v7, vcc, 0, v14, vcc
	v_mul_f64 v[4:5], v[4:5], s[6:7]
	v_cmp_gt_i32_e32 vcc, 31, v6
	v_cndmask_b32_e32 v7, v8, v7, vcc
	v_cmp_ne_u32_e32 vcc, 0, v0
	v_cndmask_b32_e64 v0, 0, 1, vcc
	v_lshl_or_b32 v0, v0, 9, v8
	v_cmp_eq_u32_e32 vcc, s15, v6
	v_cndmask_b32_e32 v0, v7, v0, vcc
	v_lshrrev_b32_e32 v1, 16, v1
	v_and_or_b32 v14, v1, s16, v0
	v_and_or_b32 v0, v5, s17, v4
	v_cmp_ne_u32_e32 vcc, 0, v0
	v_cndmask_b32_e64 v0, 0, 1, vcc
	v_lshrrev_b32_e32 v1, 8, v5
	v_and_or_b32 v4, v1, s14, v0
	v_bfe_u32 v1, v5, 20, 11
	v_sub_u32_e32 v6, 0x3f1, v1
	v_or_b32_e32 v0, 0x1000, v4
	v_med3_i32 v6, v6, 0, 13
	v_lshrrev_b32_e32 v7, v6, v0
	v_lshlrev_b32_e32 v6, v6, v7
	v_cmp_ne_u32_e32 vcc, v6, v0
	v_cndmask_b32_e64 v0, 0, 1, vcc
	v_add_u32_e32 v15, 0xfffffc10, v1
	v_or_b32_e32 v0, v7, v0
	v_lshl_or_b32 v1, v15, 12, v4
	v_cmp_gt_i32_e32 vcc, 1, v15
	v_cndmask_b32_e32 v0, v1, v0, vcc
	v_and_b32_e32 v1, 7, v0
	v_cmp_lt_i32_e32 vcc, 5, v1
	v_cmp_eq_u32_e64 s[2:3], 3, v1
	v_lshrrev_b32_e32 v6, 2, v0
	ds_read2st64_b32 v[0:1], v107 offset0:28 offset1:35
	s_or_b64 vcc, s[2:3], vcc
	v_addc_co_u32_e32 v6, vcc, 0, v6, vcc
	v_cmp_gt_i32_e32 vcc, 31, v15
	s_waitcnt lgkmcnt(0)
	v_lshrrev_b32_e32 v17, 16, v0
	v_cndmask_b32_e32 v16, v8, v6, vcc
	s_waitcnt vmcnt(1)
	v_mul_f16_sdwa v6, v18, v17 dst_sel:DWORD dst_unused:UNUSED_PAD src0_sel:WORD_1 src1_sel:DWORD
	v_fma_f16 v6, v18, v0, v6
	v_mul_f16_sdwa v0, v18, v0 dst_sel:DWORD dst_unused:UNUSED_PAD src0_sel:WORD_1 src1_sel:DWORD
	v_fma_f16 v0, v18, v17, -v0
	buffer_load_dword v18, off, s[24:27], 0 offset:92 ; 4-byte Folded Reload
	v_cvt_f32_f16_e32 v6, v6
	v_cmp_ne_u32_e32 vcc, 0, v4
	v_cndmask_b32_e64 v4, 0, 1, vcc
	v_lshl_or_b32 v4, v4, 9, v8
	v_cvt_f64_f32_e32 v[6:7], v6
	v_cmp_eq_u32_e32 vcc, s15, v15
	v_cndmask_b32_e32 v4, v16, v4, vcc
	v_lshrrev_b32_e32 v5, 16, v5
	v_and_or_b32 v15, v5, s16, v4
	v_mul_f64 v[4:5], v[6:7], s[6:7]
	v_and_b32_e32 v6, 0xffff, v14
	v_lshl_or_b32 v14, v15, 16, v6
	v_add_co_u32_e32 v6, vcc, s10, v2
	v_addc_co_u32_e32 v7, vcc, v3, v9, vcc
	global_store_dword v[6:7], v14, off
	v_and_or_b32 v2, v5, s17, v4
	v_cmp_ne_u32_e32 vcc, 0, v2
	v_cndmask_b32_e64 v2, 0, 1, vcc
	v_lshrrev_b32_e32 v3, 8, v5
	v_and_or_b32 v14, v3, s14, v2
	v_bfe_u32 v3, v5, 20, 11
	v_sub_u32_e32 v4, 0x3f1, v3
	v_or_b32_e32 v2, 0x1000, v14
	v_med3_i32 v4, v4, 0, 13
	v_lshrrev_b32_e32 v15, v4, v2
	v_lshlrev_b32_e32 v4, v4, v15
	v_cmp_ne_u32_e32 vcc, v4, v2
	v_cndmask_b32_e64 v2, 0, 1, vcc
	v_or_b32_e32 v2, v15, v2
	v_add_u32_e32 v15, 0xfffffc10, v3
	v_cvt_f32_f16_e32 v0, v0
	v_lshl_or_b32 v3, v15, 12, v14
	v_cmp_gt_i32_e32 vcc, 1, v15
	v_cndmask_b32_e32 v2, v3, v2, vcc
	v_and_b32_e32 v3, 7, v2
	v_cmp_lt_i32_e32 vcc, 5, v3
	v_cmp_eq_u32_e64 s[2:3], 3, v3
	v_lshrrev_b32_e32 v4, 2, v2
	v_cvt_f64_f32_e32 v[2:3], v0
	s_or_b64 vcc, s[2:3], vcc
	v_addc_co_u32_e32 v0, vcc, 0, v4, vcc
	v_mul_f64 v[3:4], v[2:3], s[6:7]
	v_cmp_gt_i32_e32 vcc, 31, v15
	v_cndmask_b32_e32 v0, v8, v0, vcc
	v_cmp_ne_u32_e32 vcc, 0, v14
	v_cndmask_b32_e64 v2, 0, 1, vcc
	v_lshl_or_b32 v2, v2, 9, v8
	v_cmp_eq_u32_e32 vcc, s15, v15
	v_cndmask_b32_e32 v0, v0, v2, vcc
	v_lshrrev_b32_e32 v2, 16, v5
	v_and_or_b32 v0, v2, s16, v0
	v_and_or_b32 v2, v4, s17, v3
	v_cmp_ne_u32_e32 vcc, 0, v2
	v_cndmask_b32_e64 v2, 0, 1, vcc
	v_lshrrev_b32_e32 v3, 8, v4
	v_and_or_b32 v5, v3, s14, v2
	v_bfe_u32 v3, v4, 20, 11
	v_sub_u32_e32 v14, 0x3f1, v3
	v_or_b32_e32 v2, 0x1000, v5
	v_med3_i32 v14, v14, 0, 13
	v_lshrrev_b32_e32 v15, v14, v2
	v_lshlrev_b32_e32 v14, v14, v15
	v_cmp_ne_u32_e32 vcc, v14, v2
	v_cndmask_b32_e64 v2, 0, 1, vcc
	v_add_u32_e32 v16, 0xfffffc10, v3
	v_or_b32_e32 v2, v15, v2
	v_lshl_or_b32 v3, v16, 12, v5
	v_cmp_gt_i32_e32 vcc, 1, v16
	v_cndmask_b32_e32 v2, v3, v2, vcc
	v_and_b32_e32 v3, 7, v2
	v_cmp_lt_i32_e32 vcc, 5, v3
	v_cmp_eq_u32_e64 s[2:3], 3, v3
	v_lshrrev_b32_e32 v14, 2, v2
	ds_read2st64_b32 v[2:3], v10 offset0:71 offset1:78
	s_or_b64 vcc, s[2:3], vcc
	v_addc_co_u32_e32 v10, vcc, 0, v14, vcc
	v_cmp_gt_i32_e32 vcc, 31, v16
	s_waitcnt lgkmcnt(0)
	v_lshrrev_b32_e32 v17, 16, v2
	s_waitcnt vmcnt(1)
	v_mul_f16_sdwa v14, v18, v17 dst_sel:DWORD dst_unused:UNUSED_PAD src0_sel:WORD_1 src1_sel:DWORD
	v_fma_f16 v14, v18, v2, v14
	v_mul_f16_sdwa v2, v18, v2 dst_sel:DWORD dst_unused:UNUSED_PAD src0_sel:WORD_1 src1_sel:DWORD
	v_fma_f16 v2, v18, v17, -v2
	buffer_load_dword v18, off, s[24:27], 0 offset:88 ; 4-byte Folded Reload
	v_cvt_f32_f16_e32 v14, v14
	v_cndmask_b32_e32 v10, v8, v10, vcc
	v_cmp_ne_u32_e32 vcc, 0, v5
	v_cndmask_b32_e64 v5, 0, 1, vcc
	v_cvt_f64_f32_e32 v[14:15], v14
	v_lshl_or_b32 v5, v5, 9, v8
	v_cmp_eq_u32_e32 vcc, s15, v16
	v_cndmask_b32_e32 v5, v10, v5, vcc
	v_lshrrev_b32_e32 v4, 16, v4
	v_and_or_b32 v10, v4, s16, v5
	v_mul_f64 v[4:5], v[14:15], s[6:7]
	v_and_b32_e32 v0, 0xffff, v0
	v_add_co_u32_e32 v6, vcc, s4, v6
	v_lshl_or_b32 v0, v10, 16, v0
	v_addc_co_u32_e32 v7, vcc, v7, v13, vcc
	global_store_dword v[6:7], v0, off
	v_and_or_b32 v0, v5, s17, v4
	v_cmp_ne_u32_e32 vcc, 0, v0
	v_cndmask_b32_e64 v0, 0, 1, vcc
	v_lshrrev_b32_e32 v4, 8, v5
	v_bfe_u32 v10, v5, 20, 11
	v_and_or_b32 v0, v4, s14, v0
	v_sub_u32_e32 v14, 0x3f1, v10
	v_or_b32_e32 v4, 0x1000, v0
	v_med3_i32 v14, v14, 0, 13
	v_lshrrev_b32_e32 v15, v14, v4
	v_lshlrev_b32_e32 v14, v14, v15
	v_cmp_ne_u32_e32 vcc, v14, v4
	v_cndmask_b32_e64 v4, 0, 1, vcc
	v_add_u32_e32 v10, 0xfffffc10, v10
	v_cvt_f32_f16_e32 v2, v2
	v_or_b32_e32 v4, v15, v4
	v_lshl_or_b32 v14, v10, 12, v0
	v_cmp_gt_i32_e32 vcc, 1, v10
	v_cndmask_b32_e32 v4, v14, v4, vcc
	v_and_b32_e32 v14, 7, v4
	v_cmp_lt_i32_e32 vcc, 5, v14
	v_cmp_eq_u32_e64 s[2:3], 3, v14
	v_cvt_f64_f32_e32 v[14:15], v2
	v_lshrrev_b32_e32 v4, 2, v4
	s_or_b64 vcc, s[2:3], vcc
	v_addc_co_u32_e32 v2, vcc, 0, v4, vcc
	v_mul_f64 v[14:15], v[14:15], s[6:7]
	v_cmp_gt_i32_e32 vcc, 31, v10
	v_cndmask_b32_e32 v2, v8, v2, vcc
	v_cmp_ne_u32_e32 vcc, 0, v0
	v_cndmask_b32_e64 v0, 0, 1, vcc
	v_lshl_or_b32 v0, v0, 9, v8
	v_cmp_eq_u32_e32 vcc, s15, v10
	v_cndmask_b32_e32 v0, v2, v0, vcc
	v_lshrrev_b32_e32 v2, 16, v5
	v_and_or_b32 v0, v2, s16, v0
	v_and_or_b32 v2, v15, s17, v14
	v_cmp_ne_u32_e32 vcc, 0, v2
	v_cndmask_b32_e64 v2, 0, 1, vcc
	v_lshrrev_b32_e32 v4, 8, v15
	v_bfe_u32 v5, v15, 20, 11
	v_and_or_b32 v2, v4, s14, v2
	v_sub_u32_e32 v10, 0x3f1, v5
	v_or_b32_e32 v4, 0x1000, v2
	v_med3_i32 v10, v10, 0, 13
	v_lshrrev_b32_e32 v14, v10, v4
	v_lshlrev_b32_e32 v10, v10, v14
	v_cmp_ne_u32_e32 vcc, v10, v4
	v_cndmask_b32_e64 v4, 0, 1, vcc
	v_or_b32_e32 v4, v14, v4
	v_add_u32_e32 v14, 0xfffffc10, v5
	v_lshl_or_b32 v5, v14, 12, v2
	v_cmp_gt_i32_e32 vcc, 1, v14
	v_cndmask_b32_e32 v4, v5, v4, vcc
	v_and_b32_e32 v5, 7, v4
	v_cmp_lt_i32_e32 vcc, 5, v5
	v_cmp_eq_u32_e64 s[2:3], 3, v5
	v_lshrrev_b32_e32 v10, 2, v4
	ds_read2st64_b32 v[4:5], v11 offset0:115 offset1:122
	s_or_b64 vcc, s[2:3], vcc
	v_addc_co_u32_e32 v10, vcc, 0, v10, vcc
	v_cmp_gt_i32_e32 vcc, 31, v14
	s_waitcnt lgkmcnt(0)
	v_lshrrev_b32_e32 v17, 16, v4
	v_cndmask_b32_e32 v16, v8, v10, vcc
	s_waitcnt vmcnt(1)
	v_mul_f16_sdwa v10, v18, v17 dst_sel:DWORD dst_unused:UNUSED_PAD src0_sel:WORD_1 src1_sel:DWORD
	v_fma_f16 v10, v18, v4, v10
	v_mul_f16_sdwa v4, v18, v4 dst_sel:DWORD dst_unused:UNUSED_PAD src0_sel:WORD_1 src1_sel:DWORD
	v_fma_f16 v4, v18, v17, -v4
	buffer_load_dword v18, off, s[24:27], 0 offset:84 ; 4-byte Folded Reload
	v_cvt_f32_f16_e32 v10, v10
	v_cmp_ne_u32_e32 vcc, 0, v2
	v_cndmask_b32_e64 v2, 0, 1, vcc
	v_lshl_or_b32 v2, v2, 9, v8
	v_cvt_f64_f32_e32 v[10:11], v10
	v_cmp_eq_u32_e32 vcc, s15, v14
	v_cndmask_b32_e32 v2, v16, v2, vcc
	v_lshrrev_b32_e32 v14, 16, v15
	v_mul_f64 v[10:11], v[10:11], s[6:7]
	v_and_or_b32 v2, v14, s16, v2
	v_and_b32_e32 v0, 0xffff, v0
	v_add_co_u32_e32 v14, vcc, s10, v6
	v_lshl_or_b32 v0, v2, 16, v0
	v_addc_co_u32_e32 v15, vcc, v7, v9, vcc
	global_store_dword v[14:15], v0, off
	v_and_or_b32 v0, v11, s17, v10
	v_cmp_ne_u32_e32 vcc, 0, v0
	v_cndmask_b32_e64 v0, 0, 1, vcc
	v_lshrrev_b32_e32 v2, 8, v11
	v_bfe_u32 v6, v11, 20, 11
	v_and_or_b32 v0, v2, s14, v0
	v_sub_u32_e32 v7, 0x3f1, v6
	v_or_b32_e32 v2, 0x1000, v0
	v_med3_i32 v7, v7, 0, 13
	v_lshrrev_b32_e32 v10, v7, v2
	v_lshlrev_b32_e32 v7, v7, v10
	v_cmp_ne_u32_e32 vcc, v7, v2
	v_cndmask_b32_e64 v2, 0, 1, vcc
	v_or_b32_e32 v2, v10, v2
	v_add_u32_e32 v10, 0xfffffc10, v6
	v_cvt_f32_f16_e32 v4, v4
	v_lshl_or_b32 v6, v10, 12, v0
	v_cmp_gt_i32_e32 vcc, 1, v10
	v_cndmask_b32_e32 v2, v6, v2, vcc
	v_and_b32_e32 v6, 7, v2
	v_cmp_lt_i32_e32 vcc, 5, v6
	v_cmp_eq_u32_e64 s[2:3], 3, v6
	v_cvt_f64_f32_e32 v[6:7], v4
	v_lshrrev_b32_e32 v2, 2, v2
	s_or_b64 vcc, s[2:3], vcc
	v_addc_co_u32_e32 v2, vcc, 0, v2, vcc
	v_mul_f64 v[16:17], v[6:7], s[6:7]
	v_cmp_gt_i32_e32 vcc, 31, v10
	v_cndmask_b32_e32 v2, v8, v2, vcc
	v_cmp_ne_u32_e32 vcc, 0, v0
	v_cndmask_b32_e64 v0, 0, 1, vcc
	v_lshl_or_b32 v0, v0, 9, v8
	v_cmp_eq_u32_e32 vcc, s15, v10
	v_cndmask_b32_e32 v0, v2, v0, vcc
	v_lshrrev_b32_e32 v2, 16, v11
	v_and_or_b32 v0, v2, s16, v0
	v_and_or_b32 v2, v17, s17, v16
	v_cmp_ne_u32_e32 vcc, 0, v2
	v_cndmask_b32_e64 v2, 0, 1, vcc
	v_lshrrev_b32_e32 v4, 8, v17
	v_bfe_u32 v6, v17, 20, 11
	v_and_or_b32 v2, v4, s14, v2
	v_sub_u32_e32 v7, 0x3f1, v6
	v_or_b32_e32 v4, 0x1000, v2
	v_med3_i32 v7, v7, 0, 13
	v_lshrrev_b32_e32 v10, v7, v4
	v_lshlrev_b32_e32 v7, v7, v10
	v_cmp_ne_u32_e32 vcc, v7, v4
	v_cndmask_b32_e64 v4, 0, 1, vcc
	v_add_u32_e32 v16, 0xfffffc10, v6
	v_or_b32_e32 v4, v10, v4
	v_lshl_or_b32 v6, v16, 12, v2
	v_cmp_gt_i32_e32 vcc, 1, v16
	v_cndmask_b32_e32 v4, v6, v4, vcc
	v_and_b32_e32 v6, 7, v4
	v_cmp_lt_i32_e32 vcc, 5, v6
	v_cmp_eq_u32_e64 s[2:3], 3, v6
	ds_read2st64_b32 v[6:7], v12 offset0:159 offset1:166
	v_lshrrev_b32_e32 v4, 2, v4
	s_or_b64 vcc, s[2:3], vcc
	v_addc_co_u32_e32 v4, vcc, 0, v4, vcc
	s_waitcnt lgkmcnt(0)
	v_lshrrev_b32_e32 v12, 16, v6
	s_waitcnt vmcnt(1)
	v_mul_f16_sdwa v10, v18, v12 dst_sel:DWORD dst_unused:UNUSED_PAD src0_sel:WORD_1 src1_sel:DWORD
	v_fma_f16 v10, v18, v6, v10
	v_cvt_f32_f16_e32 v10, v10
	v_cmp_gt_i32_e32 vcc, 31, v16
	v_cndmask_b32_e32 v4, v8, v4, vcc
	v_cmp_ne_u32_e32 vcc, 0, v2
	v_cvt_f64_f32_e32 v[10:11], v10
	v_cndmask_b32_e64 v2, 0, 1, vcc
	v_lshl_or_b32 v2, v2, 9, v8
	v_cmp_eq_u32_e32 vcc, s15, v16
	v_mul_f64 v[10:11], v[10:11], s[6:7]
	v_cndmask_b32_e32 v2, v4, v2, vcc
	v_lshrrev_b32_e32 v4, 16, v17
	v_and_or_b32 v2, v4, s16, v2
	v_and_b32_e32 v0, 0xffff, v0
	v_add_co_u32_e32 v14, vcc, s10, v14
	v_lshl_or_b32 v0, v2, 16, v0
	v_addc_co_u32_e32 v15, vcc, v15, v9, vcc
	global_store_dword v[14:15], v0, off
	v_and_or_b32 v0, v11, s17, v10
	v_cmp_ne_u32_e32 vcc, 0, v0
	v_cndmask_b32_e64 v0, 0, 1, vcc
	v_lshrrev_b32_e32 v2, 8, v11
	v_bfe_u32 v4, v11, 20, 11
	v_and_or_b32 v0, v2, s14, v0
	v_sub_u32_e32 v10, 0x3f1, v4
	v_mul_f16_sdwa v6, v18, v6 dst_sel:DWORD dst_unused:UNUSED_PAD src0_sel:WORD_1 src1_sel:DWORD
	v_or_b32_e32 v2, 0x1000, v0
	v_med3_i32 v10, v10, 0, 13
	v_fma_f16 v6, v18, v12, -v6
	v_lshrrev_b32_e32 v16, v10, v2
	v_cvt_f32_f16_e32 v6, v6
	v_lshlrev_b32_e32 v10, v10, v16
	v_cmp_ne_u32_e32 vcc, v10, v2
	v_cndmask_b32_e64 v2, 0, 1, vcc
	v_or_b32_e32 v2, v16, v2
	v_add_u32_e32 v4, 0xfffffc10, v4
	v_cvt_f64_f32_e32 v[16:17], v6
	v_lshl_or_b32 v10, v4, 12, v0
	v_cmp_gt_i32_e32 vcc, 1, v4
	v_cndmask_b32_e32 v2, v10, v2, vcc
	v_and_b32_e32 v10, 7, v2
	v_cmp_lt_i32_e32 vcc, 5, v10
	v_cmp_eq_u32_e64 s[2:3], 3, v10
	v_mul_f64 v[16:17], v[16:17], s[6:7]
	v_lshrrev_b32_e32 v2, 2, v2
	s_or_b64 vcc, s[2:3], vcc
	v_addc_co_u32_e32 v2, vcc, 0, v2, vcc
	v_cmp_gt_i32_e32 vcc, 31, v4
	v_cndmask_b32_e32 v2, v8, v2, vcc
	v_cmp_ne_u32_e32 vcc, 0, v0
	v_cndmask_b32_e64 v0, 0, 1, vcc
	v_lshl_or_b32 v0, v0, 9, v8
	v_cmp_eq_u32_e32 vcc, s15, v4
	v_cndmask_b32_e32 v0, v2, v0, vcc
	v_lshrrev_b32_e32 v2, 16, v11
	v_and_or_b32 v0, v2, s16, v0
	v_and_or_b32 v2, v17, s17, v16
	buffer_load_dword v16, off, s[24:27], 0 offset:76 ; 4-byte Folded Reload
	v_cmp_ne_u32_e32 vcc, 0, v2
	v_cndmask_b32_e64 v2, 0, 1, vcc
	v_lshrrev_b32_e32 v4, 8, v17
	v_bfe_u32 v6, v17, 20, 11
	v_and_or_b32 v2, v4, s14, v2
	v_sub_u32_e32 v10, 0x3f1, v6
	v_or_b32_e32 v4, 0x1000, v2
	v_med3_i32 v10, v10, 0, 13
	v_lshrrev_b32_e32 v11, v10, v4
	v_lshlrev_b32_e32 v10, v10, v11
	v_cmp_ne_u32_e32 vcc, v10, v4
	v_cndmask_b32_e64 v4, 0, 1, vcc
	v_add_u32_e32 v6, 0xfffffc10, v6
	v_or_b32_e32 v4, v11, v4
	v_lshl_or_b32 v10, v6, 12, v2
	v_cmp_gt_i32_e32 vcc, 1, v6
	v_cndmask_b32_e32 v4, v10, v4, vcc
	v_and_b32_e32 v10, 7, v4
	v_lshrrev_b32_e32 v12, 16, v1
	v_cmp_lt_i32_e32 vcc, 5, v10
	v_cmp_eq_u32_e64 s[2:3], 3, v10
	v_lshrrev_b32_e32 v4, 2, v4
	s_or_b64 vcc, s[2:3], vcc
	v_addc_co_u32_e32 v4, vcc, 0, v4, vcc
	v_cmp_gt_i32_e32 vcc, 31, v6
	v_cndmask_b32_e32 v4, v8, v4, vcc
	v_cmp_ne_u32_e32 vcc, 0, v2
	v_cndmask_b32_e64 v2, 0, 1, vcc
	v_lshl_or_b32 v2, v2, 9, v8
	v_cmp_eq_u32_e32 vcc, s15, v6
	v_cndmask_b32_e32 v2, v4, v2, vcc
	v_lshrrev_b32_e32 v4, 16, v17
	v_and_or_b32 v2, v4, s16, v2
	v_and_b32_e32 v0, 0xffff, v0
	v_add_co_u32_e32 v14, vcc, s10, v14
	v_lshl_or_b32 v0, v2, 16, v0
	v_addc_co_u32_e32 v15, vcc, v15, v9, vcc
	global_store_dword v[14:15], v0, off
	s_waitcnt vmcnt(1)
	v_mul_f16_sdwa v10, v16, v12 dst_sel:DWORD dst_unused:UNUSED_PAD src0_sel:WORD_1 src1_sel:DWORD
	v_fma_f16 v10, v16, v1, v10
	v_mul_f16_sdwa v1, v16, v1 dst_sel:DWORD dst_unused:UNUSED_PAD src0_sel:WORD_1 src1_sel:DWORD
	v_fma_f16 v1, v16, v12, -v1
	buffer_load_dword v16, off, s[24:27], 0 offset:80 ; 4-byte Folded Reload
	v_cvt_f32_f16_e32 v10, v10
	v_cvt_f32_f16_e32 v1, v1
	v_lshrrev_b32_e32 v12, 16, v3
	v_cvt_f64_f32_e32 v[10:11], v10
	v_mul_f64 v[10:11], v[10:11], s[6:7]
	v_and_or_b32 v0, v11, s17, v10
	v_cmp_ne_u32_e32 vcc, 0, v0
	v_cndmask_b32_e64 v0, 0, 1, vcc
	v_lshrrev_b32_e32 v2, 8, v11
	v_bfe_u32 v4, v11, 20, 11
	v_and_or_b32 v2, v2, s14, v0
	v_sub_u32_e32 v6, 0x3f1, v4
	v_or_b32_e32 v0, 0x1000, v2
	v_med3_i32 v6, v6, 0, 13
	v_lshrrev_b32_e32 v10, v6, v0
	v_lshlrev_b32_e32 v6, v6, v10
	v_cmp_ne_u32_e32 vcc, v6, v0
	v_cndmask_b32_e64 v0, 0, 1, vcc
	v_add_u32_e32 v4, 0xfffffc10, v4
	v_or_b32_e32 v0, v10, v0
	v_lshl_or_b32 v6, v4, 12, v2
	v_cmp_gt_i32_e32 vcc, 1, v4
	v_cndmask_b32_e32 v0, v6, v0, vcc
	v_and_b32_e32 v6, 7, v0
	v_cmp_lt_i32_e32 vcc, 5, v6
	v_cmp_eq_u32_e64 s[2:3], 3, v6
	v_lshrrev_b32_e32 v6, 2, v0
	v_cvt_f64_f32_e32 v[0:1], v1
	s_or_b64 vcc, s[2:3], vcc
	v_addc_co_u32_e32 v6, vcc, 0, v6, vcc
	v_mul_f64 v[0:1], v[0:1], s[6:7]
	v_cmp_gt_i32_e32 vcc, 31, v4
	v_cndmask_b32_e32 v6, v8, v6, vcc
	v_cmp_ne_u32_e32 vcc, 0, v2
	v_cndmask_b32_e64 v2, 0, 1, vcc
	v_lshl_or_b32 v2, v2, 9, v8
	v_cmp_eq_u32_e32 vcc, s15, v4
	v_cndmask_b32_e32 v2, v6, v2, vcc
	v_and_or_b32 v0, v1, s17, v0
	v_lshrrev_b32_e32 v4, 16, v11
	v_cmp_ne_u32_e32 vcc, 0, v0
	v_and_or_b32 v2, v4, s16, v2
	v_cndmask_b32_e64 v0, 0, 1, vcc
	v_lshrrev_b32_e32 v4, 8, v1
	v_bfe_u32 v6, v1, 20, 11
	v_and_or_b32 v0, v4, s14, v0
	v_sub_u32_e32 v10, 0x3f1, v6
	v_or_b32_e32 v4, 0x1000, v0
	v_med3_i32 v10, v10, 0, 13
	v_lshrrev_b32_e32 v11, v10, v4
	v_lshlrev_b32_e32 v10, v10, v11
	v_cmp_ne_u32_e32 vcc, v10, v4
	v_cndmask_b32_e64 v4, 0, 1, vcc
	v_add_u32_e32 v6, 0xfffffc10, v6
	v_or_b32_e32 v4, v11, v4
	v_lshl_or_b32 v10, v6, 12, v0
	v_cmp_gt_i32_e32 vcc, 1, v6
	v_cndmask_b32_e32 v4, v10, v4, vcc
	v_and_b32_e32 v10, 7, v4
	v_cmp_lt_i32_e32 vcc, 5, v10
	v_cmp_eq_u32_e64 s[2:3], 3, v10
	v_lshrrev_b32_e32 v4, 2, v4
	s_or_b64 vcc, s[2:3], vcc
	v_addc_co_u32_e32 v4, vcc, 0, v4, vcc
	v_cmp_gt_i32_e32 vcc, 31, v6
	v_cndmask_b32_e32 v4, v8, v4, vcc
	s_waitcnt vmcnt(0)
	v_mul_f16_sdwa v10, v16, v12 dst_sel:DWORD dst_unused:UNUSED_PAD src0_sel:WORD_1 src1_sel:DWORD
	v_fma_f16 v10, v16, v3, v10
	v_cvt_f32_f16_e32 v10, v10
	v_cmp_ne_u32_e32 vcc, 0, v0
	v_cndmask_b32_e64 v0, 0, 1, vcc
	v_lshl_or_b32 v0, v0, 9, v8
	v_cvt_f64_f32_e32 v[10:11], v10
	v_cmp_eq_u32_e32 vcc, s15, v6
	v_cndmask_b32_e32 v0, v4, v0, vcc
	v_lshrrev_b32_e32 v1, 16, v1
	v_and_or_b32 v4, v1, s16, v0
	v_mul_f64 v[0:1], v[10:11], s[6:7]
	v_add_co_u32_e32 v10, vcc, s4, v14
	buffer_load_dword v14, off, s[24:27], 0 offset:72 ; 4-byte Folded Reload
	v_and_b32_e32 v2, 0xffff, v2
	v_addc_co_u32_e32 v11, vcc, v15, v13, vcc
	v_lshl_or_b32 v2, v4, 16, v2
	v_and_or_b32 v0, v1, s17, v0
	v_cmp_ne_u32_e32 vcc, 0, v0
	global_store_dword v[10:11], v2, off
	v_cndmask_b32_e64 v0, 0, 1, vcc
	v_lshrrev_b32_e32 v2, 8, v1
	v_bfe_u32 v4, v1, 20, 11
	v_and_or_b32 v0, v2, s14, v0
	v_sub_u32_e32 v6, 0x3f1, v4
	v_or_b32_e32 v2, 0x1000, v0
	v_med3_i32 v6, v6, 0, 13
	v_lshrrev_b32_e32 v13, v6, v2
	v_lshlrev_b32_e32 v6, v6, v13
	v_mul_f16_sdwa v3, v16, v3 dst_sel:DWORD dst_unused:UNUSED_PAD src0_sel:WORD_1 src1_sel:DWORD
	v_cmp_ne_u32_e32 vcc, v6, v2
	v_fma_f16 v3, v16, v12, -v3
	v_cndmask_b32_e64 v2, 0, 1, vcc
	v_add_u32_e32 v4, 0xfffffc10, v4
	v_cvt_f32_f16_e32 v3, v3
	v_or_b32_e32 v2, v13, v2
	v_lshl_or_b32 v6, v4, 12, v0
	v_cmp_gt_i32_e32 vcc, 1, v4
	v_cndmask_b32_e32 v2, v6, v2, vcc
	v_and_b32_e32 v6, 7, v2
	v_cmp_lt_i32_e32 vcc, 5, v6
	v_cmp_eq_u32_e64 s[2:3], 3, v6
	v_lshrrev_b32_e32 v6, 2, v2
	v_cvt_f64_f32_e32 v[2:3], v3
	s_or_b64 vcc, s[2:3], vcc
	v_addc_co_u32_e32 v6, vcc, 0, v6, vcc
	v_mul_f64 v[2:3], v[2:3], s[6:7]
	v_cmp_gt_i32_e32 vcc, 31, v4
	v_cndmask_b32_e32 v6, v8, v6, vcc
	v_cmp_ne_u32_e32 vcc, 0, v0
	v_cndmask_b32_e64 v0, 0, 1, vcc
	v_lshl_or_b32 v0, v0, 9, v8
	v_cmp_eq_u32_e32 vcc, s15, v4
	v_cndmask_b32_e32 v0, v6, v0, vcc
	v_lshrrev_b32_e32 v1, 16, v1
	v_and_or_b32 v4, v1, s16, v0
	v_and_or_b32 v0, v3, s17, v2
	v_cmp_ne_u32_e32 vcc, 0, v0
	v_cndmask_b32_e64 v0, 0, 1, vcc
	v_lshrrev_b32_e32 v1, 8, v3
	v_bfe_u32 v2, v3, 20, 11
	v_and_or_b32 v0, v1, s14, v0
	v_sub_u32_e32 v6, 0x3f1, v2
	v_or_b32_e32 v1, 0x1000, v0
	v_med3_i32 v6, v6, 0, 13
	v_lshrrev_b32_e32 v12, v6, v1
	v_lshlrev_b32_e32 v6, v6, v12
	v_cmp_ne_u32_e32 vcc, v6, v1
	v_cndmask_b32_e64 v1, 0, 1, vcc
	v_add_u32_e32 v2, 0xfffffc10, v2
	v_or_b32_e32 v1, v12, v1
	v_lshl_or_b32 v6, v2, 12, v0
	v_cmp_gt_i32_e32 vcc, 1, v2
	v_cndmask_b32_e32 v1, v6, v1, vcc
	v_and_b32_e32 v6, 7, v1
	v_cmp_lt_i32_e32 vcc, 5, v6
	v_cmp_eq_u32_e64 s[2:3], 3, v6
	v_lshrrev_b32_e32 v1, 2, v1
	s_or_b64 vcc, s[2:3], vcc
	v_addc_co_u32_e32 v1, vcc, 0, v1, vcc
	v_cmp_gt_i32_e32 vcc, 31, v2
	v_cndmask_b32_e32 v6, v8, v1, vcc
	v_cmp_ne_u32_e32 vcc, 0, v0
	v_cndmask_b32_e64 v0, 0, 1, vcc
	v_lshl_or_b32 v13, v0, 9, v8
	v_cmp_eq_u32_e32 vcc, s15, v2
	v_cndmask_b32_e32 v2, v6, v13, vcc
	buffer_load_dword v13, off, s[24:27], 0 offset:68 ; 4-byte Folded Reload
	v_lshrrev_b32_e32 v12, 16, v5
	v_lshrrev_b32_e32 v3, 16, v3
	s_waitcnt vmcnt(2)
	v_mul_f16_sdwa v1, v14, v12 dst_sel:DWORD dst_unused:UNUSED_PAD src0_sel:WORD_1 src1_sel:DWORD
	v_fma_f16 v1, v14, v5, v1
	v_cvt_f32_f16_e32 v1, v1
	v_and_or_b32 v2, v3, s16, v2
	v_and_b32_e32 v3, 0xffff, v4
	v_lshl_or_b32 v4, v2, 16, v3
	v_cvt_f64_f32_e32 v[0:1], v1
	v_add_co_u32_e32 v2, vcc, s10, v10
	v_addc_co_u32_e32 v3, vcc, v11, v9, vcc
	v_mul_f64 v[0:1], v[0:1], s[6:7]
	global_store_dword v[2:3], v4, off
	v_mul_f16_sdwa v5, v14, v5 dst_sel:DWORD dst_unused:UNUSED_PAD src0_sel:WORD_1 src1_sel:DWORD
	v_fma_f16 v5, v14, v12, -v5
	v_cvt_f32_f16_e32 v5, v5
	v_and_or_b32 v0, v1, s17, v0
	v_cmp_ne_u32_e32 vcc, 0, v0
	v_cndmask_b32_e64 v0, 0, 1, vcc
	v_lshrrev_b32_e32 v4, 8, v1
	v_bfe_u32 v6, v1, 20, 11
	v_and_or_b32 v0, v4, s14, v0
	v_sub_u32_e32 v10, 0x3f1, v6
	v_or_b32_e32 v4, 0x1000, v0
	v_med3_i32 v10, v10, 0, 13
	v_lshrrev_b32_e32 v11, v10, v4
	v_lshlrev_b32_e32 v10, v10, v11
	v_cmp_ne_u32_e32 vcc, v10, v4
	v_cndmask_b32_e64 v4, 0, 1, vcc
	v_add_u32_e32 v6, 0xfffffc10, v6
	v_or_b32_e32 v4, v11, v4
	v_lshl_or_b32 v10, v6, 12, v0
	v_cmp_gt_i32_e32 vcc, 1, v6
	v_cndmask_b32_e32 v4, v10, v4, vcc
	v_and_b32_e32 v10, 7, v4
	v_cmp_lt_i32_e32 vcc, 5, v10
	v_cmp_eq_u32_e64 s[2:3], 3, v10
	v_lshrrev_b32_e32 v10, 2, v4
	v_cvt_f64_f32_e32 v[4:5], v5
	s_or_b64 vcc, s[2:3], vcc
	v_addc_co_u32_e32 v10, vcc, 0, v10, vcc
	v_mul_f64 v[4:5], v[4:5], s[6:7]
	v_cmp_gt_i32_e32 vcc, 31, v6
	v_cndmask_b32_e32 v10, v8, v10, vcc
	v_cmp_ne_u32_e32 vcc, 0, v0
	v_cndmask_b32_e64 v0, 0, 1, vcc
	v_lshl_or_b32 v0, v0, 9, v8
	v_cmp_eq_u32_e32 vcc, s15, v6
	v_cndmask_b32_e32 v0, v10, v0, vcc
	v_lshrrev_b32_e32 v1, 16, v1
	v_and_or_b32 v6, v1, s16, v0
	v_and_or_b32 v0, v5, s17, v4
	v_cmp_ne_u32_e32 vcc, 0, v0
	v_cndmask_b32_e64 v0, 0, 1, vcc
	v_lshrrev_b32_e32 v1, 8, v5
	v_bfe_u32 v4, v5, 20, 11
	v_and_or_b32 v0, v1, s14, v0
	v_sub_u32_e32 v10, 0x3f1, v4
	v_or_b32_e32 v1, 0x1000, v0
	v_med3_i32 v10, v10, 0, 13
	v_lshrrev_b32_e32 v11, v10, v1
	v_lshlrev_b32_e32 v10, v10, v11
	v_cmp_ne_u32_e32 vcc, v10, v1
	v_cndmask_b32_e64 v1, 0, 1, vcc
	v_add_u32_e32 v4, 0xfffffc10, v4
	v_or_b32_e32 v1, v11, v1
	v_lshl_or_b32 v10, v4, 12, v0
	v_cmp_gt_i32_e32 vcc, 1, v4
	v_cndmask_b32_e32 v1, v10, v1, vcc
	v_and_b32_e32 v10, 7, v1
	v_cmp_lt_i32_e32 vcc, 5, v10
	v_cmp_eq_u32_e64 s[2:3], 3, v10
	v_lshrrev_b32_e32 v1, 2, v1
	s_or_b64 vcc, s[2:3], vcc
	v_addc_co_u32_e32 v1, vcc, 0, v1, vcc
	v_cmp_gt_i32_e32 vcc, 31, v4
	v_lshrrev_b32_e32 v11, 16, v7
	v_cndmask_b32_e32 v10, v8, v1, vcc
	s_waitcnt vmcnt(1)
	v_mul_f16_sdwa v1, v13, v11 dst_sel:DWORD dst_unused:UNUSED_PAD src0_sel:WORD_1 src1_sel:DWORD
	v_fma_f16 v1, v13, v7, v1
	v_cvt_f32_f16_e32 v1, v1
	v_cmp_ne_u32_e32 vcc, 0, v0
	v_cndmask_b32_e64 v0, 0, 1, vcc
	v_lshl_or_b32 v12, v0, 9, v8
	v_cvt_f64_f32_e32 v[0:1], v1
	v_cmp_eq_u32_e32 vcc, s15, v4
	v_cndmask_b32_e32 v4, v10, v12, vcc
	v_lshrrev_b32_e32 v5, 16, v5
	v_mul_f64 v[0:1], v[0:1], s[6:7]
	v_add_co_u32_e32 v2, vcc, s10, v2
	v_and_or_b32 v4, v5, s16, v4
	v_and_b32_e32 v5, 0xffff, v6
	v_addc_co_u32_e32 v3, vcc, v3, v9, vcc
	v_lshl_or_b32 v4, v4, 16, v5
	v_and_or_b32 v0, v1, s17, v0
	v_cmp_ne_u32_e32 vcc, 0, v0
	global_store_dword v[2:3], v4, off
	v_cndmask_b32_e64 v0, 0, 1, vcc
	v_lshrrev_b32_e32 v4, 8, v1
	v_bfe_u32 v5, v1, 20, 11
	v_and_or_b32 v0, v4, s14, v0
	v_sub_u32_e32 v6, 0x3f1, v5
	v_or_b32_e32 v4, 0x1000, v0
	v_med3_i32 v6, v6, 0, 13
	v_lshrrev_b32_e32 v10, v6, v4
	v_lshlrev_b32_e32 v6, v6, v10
	v_mul_f16_sdwa v7, v13, v7 dst_sel:DWORD dst_unused:UNUSED_PAD src0_sel:WORD_1 src1_sel:DWORD
	v_cmp_ne_u32_e32 vcc, v6, v4
	v_fma_f16 v7, v13, v11, -v7
	v_cndmask_b32_e64 v4, 0, 1, vcc
	v_add_u32_e32 v6, 0xfffffc10, v5
	v_cvt_f32_f16_e32 v7, v7
	v_or_b32_e32 v4, v10, v4
	v_lshl_or_b32 v5, v6, 12, v0
	v_cmp_gt_i32_e32 vcc, 1, v6
	v_cndmask_b32_e32 v4, v5, v4, vcc
	v_and_b32_e32 v5, 7, v4
	v_cmp_lt_i32_e32 vcc, 5, v5
	v_cmp_eq_u32_e64 s[2:3], 3, v5
	v_lshrrev_b32_e32 v10, 2, v4
	v_cvt_f64_f32_e32 v[4:5], v7
	s_or_b64 vcc, s[2:3], vcc
	v_addc_co_u32_e32 v7, vcc, 0, v10, vcc
	v_mul_f64 v[4:5], v[4:5], s[6:7]
	v_cmp_gt_i32_e32 vcc, 31, v6
	v_cndmask_b32_e32 v7, v8, v7, vcc
	v_cmp_ne_u32_e32 vcc, 0, v0
	v_cndmask_b32_e64 v0, 0, 1, vcc
	v_lshl_or_b32 v0, v0, 9, v8
	v_cmp_eq_u32_e32 vcc, s15, v6
	v_cndmask_b32_e32 v0, v7, v0, vcc
	v_lshrrev_b32_e32 v1, 16, v1
	v_and_or_b32 v0, v1, s16, v0
	v_and_or_b32 v1, v5, s17, v4
	v_cmp_ne_u32_e32 vcc, 0, v1
	v_cndmask_b32_e64 v1, 0, 1, vcc
	v_lshrrev_b32_e32 v4, 8, v5
	v_bfe_u32 v6, v5, 20, 11
	v_and_or_b32 v1, v4, s14, v1
	v_sub_u32_e32 v7, 0x3f1, v6
	v_or_b32_e32 v4, 0x1000, v1
	v_med3_i32 v7, v7, 0, 13
	v_lshrrev_b32_e32 v10, v7, v4
	v_lshlrev_b32_e32 v7, v7, v10
	v_cmp_ne_u32_e32 vcc, v7, v4
	v_cndmask_b32_e64 v4, 0, 1, vcc
	v_add_u32_e32 v6, 0xfffffc10, v6
	v_or_b32_e32 v4, v10, v4
	v_lshl_or_b32 v7, v6, 12, v1
	v_cmp_gt_i32_e32 vcc, 1, v6
	v_cndmask_b32_e32 v4, v7, v4, vcc
	v_and_b32_e32 v7, 7, v4
	v_cmp_lt_i32_e32 vcc, 5, v7
	v_cmp_eq_u32_e64 s[2:3], 3, v7
	v_lshrrev_b32_e32 v4, 2, v4
	s_or_b64 vcc, s[2:3], vcc
	v_addc_co_u32_e32 v4, vcc, 0, v4, vcc
	v_cmp_gt_i32_e32 vcc, 31, v6
	v_cndmask_b32_e32 v4, v8, v4, vcc
	v_cmp_ne_u32_e32 vcc, 0, v1
	v_cndmask_b32_e64 v1, 0, 1, vcc
	v_lshl_or_b32 v1, v1, 9, v8
	v_cmp_eq_u32_e32 vcc, s15, v6
	v_cndmask_b32_e32 v1, v4, v1, vcc
	v_lshrrev_b32_e32 v4, 16, v5
	v_and_or_b32 v1, v4, s16, v1
	v_and_b32_e32 v0, 0xffff, v0
	v_lshl_or_b32 v4, v1, 16, v0
	v_add_co_u32_e32 v0, vcc, s10, v2
	v_addc_co_u32_e32 v1, vcc, v3, v9, vcc
	global_store_dword v[0:1], v4, off
	s_and_b64 exec, exec, s[0:1]
	s_cbranch_execz .LBB0_31
; %bb.30:
	buffer_load_dword v21, off, s[24:27], 0 ; 4-byte Folded Reload
	buffer_load_dword v22, off, s[24:27], 0 offset:64 ; 4-byte Folded Reload
	s_movk_i32 s0, 0x5000
	s_waitcnt vmcnt(1)
	v_add_co_u32_e32 v2, vcc, 0x2000, v21
	s_waitcnt vmcnt(0)
	v_addc_co_u32_e32 v3, vcc, 0, v22, vcc
	global_load_dword v3, v[2:3], off offset:2560
	ds_read_b32 v5, v107 offset:10752
	ds_read_b32 v4, v107 offset:21952
	;; [unrolled: 1-line block ×3, first 2 shown]
	v_add_co_u32_e32 v11, vcc, s4, v0
	s_waitcnt lgkmcnt(2)
	v_lshrrev_b32_e32 v6, 16, v5
	s_waitcnt vmcnt(0)
	v_mul_f16_sdwa v7, v6, v3 dst_sel:DWORD dst_unused:UNUSED_PAD src0_sel:DWORD src1_sel:WORD_1
	v_fma_f16 v7, v5, v3, v7
	v_mul_f16_sdwa v5, v5, v3 dst_sel:DWORD dst_unused:UNUSED_PAD src0_sel:DWORD src1_sel:WORD_1
	v_cvt_f32_f16_e32 v7, v7
	v_fma_f16 v3, v3, v6, -v5
	v_cvt_f32_f16_e32 v3, v3
	v_cvt_f64_f32_e32 v[5:6], v7
	v_mov_b32_e32 v7, s5
	v_cvt_f64_f32_e32 v[9:10], v3
	v_addc_co_u32_e32 v12, vcc, v1, v7, vcc
	v_mul_f64 v[5:6], v[5:6], s[6:7]
	v_mul_f64 v[0:1], v[9:10], s[6:7]
	v_add_co_u32_e32 v9, vcc, s0, v21
	v_addc_co_u32_e32 v10, vcc, 0, v22, vcc
	v_and_or_b32 v3, v6, s17, v5
	v_and_or_b32 v0, v1, s17, v0
	v_cmp_ne_u32_e32 vcc, 0, v3
	v_lshrrev_b32_e32 v5, 8, v6
	v_bfe_u32 v7, v6, 20, 11
	v_cndmask_b32_e64 v3, 0, 1, vcc
	v_cmp_ne_u32_e32 vcc, 0, v0
	v_lshrrev_b32_e32 v13, 8, v1
	v_bfe_u32 v14, v1, 20, 11
	v_sub_u32_e32 v15, 0x3f1, v7
	v_cndmask_b32_e64 v0, 0, 1, vcc
	v_and_or_b32 v3, v5, s14, v3
	v_sub_u32_e32 v16, 0x3f1, v14
	v_med3_i32 v5, v15, 0, 13
	v_and_or_b32 v0, v13, s14, v0
	v_or_b32_e32 v15, 0x1000, v3
	v_add_u32_e32 v7, 0xfffffc10, v7
	v_med3_i32 v13, v16, 0, 13
	v_cmp_ne_u32_e32 vcc, 0, v3
	v_or_b32_e32 v17, 0x1000, v0
	v_lshrrev_b32_e32 v19, v5, v15
	v_add_u32_e32 v14, 0xfffffc10, v14
	v_lshl_or_b32 v16, v7, 12, v3
	v_cndmask_b32_e64 v3, 0, 1, vcc
	v_cmp_ne_u32_e32 vcc, 0, v0
	v_lshrrev_b32_e32 v20, v13, v17
	v_lshlrev_b32_e32 v5, v5, v19
	v_lshl_or_b32 v18, v14, 12, v0
	v_cndmask_b32_e64 v0, 0, 1, vcc
	v_lshlrev_b32_e32 v13, v13, v20
	v_cmp_ne_u32_e32 vcc, v5, v15
	v_cndmask_b32_e64 v5, 0, 1, vcc
	v_cmp_ne_u32_e32 vcc, v13, v17
	v_cndmask_b32_e64 v13, 0, 1, vcc
	v_or_b32_e32 v5, v19, v5
	v_cmp_gt_i32_e32 vcc, 1, v7
	v_cndmask_b32_e32 v5, v16, v5, vcc
	v_or_b32_e32 v13, v20, v13
	v_cmp_gt_i32_e32 vcc, 1, v14
	v_and_b32_e32 v15, 7, v5
	v_cndmask_b32_e32 v13, v18, v13, vcc
	v_cmp_lt_i32_e32 vcc, 5, v15
	v_cmp_eq_u32_e64 s[0:1], 3, v15
	v_lshrrev_b32_e32 v5, 2, v5
	v_and_b32_e32 v16, 7, v13
	s_or_b64 vcc, s[0:1], vcc
	v_cmp_lt_i32_e64 s[2:3], 5, v16
	v_cmp_eq_u32_e64 s[4:5], 3, v16
	v_addc_co_u32_e32 v5, vcc, 0, v5, vcc
	v_lshrrev_b32_e32 v13, 2, v13
	s_or_b64 vcc, s[4:5], s[2:3]
	v_addc_co_u32_e32 v13, vcc, 0, v13, vcc
	v_cmp_gt_i32_e32 vcc, 31, v7
	v_cndmask_b32_e32 v5, v8, v5, vcc
	v_cmp_gt_i32_e32 vcc, 31, v14
	v_lshl_or_b32 v3, v3, 9, v8
	v_cndmask_b32_e32 v13, v8, v13, vcc
	v_cmp_eq_u32_e32 vcc, s15, v7
	v_lshrrev_b32_e32 v6, 16, v6
	v_lshl_or_b32 v0, v0, 9, v8
	v_cndmask_b32_e32 v3, v5, v3, vcc
	v_cmp_eq_u32_e32 vcc, s15, v14
	v_lshrrev_b32_e32 v1, 16, v1
	v_cndmask_b32_e32 v0, v13, v0, vcc
	v_and_or_b32 v3, v6, s16, v3
	v_and_or_b32 v0, v1, s16, v0
	v_and_b32_e32 v1, 0xffff, v3
	v_lshl_or_b32 v0, v0, 16, v1
	global_store_dword v[11:12], v0, off
	global_load_dword v0, v[9:10], off offset:1472
	s_waitcnt lgkmcnt(1)
	v_lshrrev_b32_e32 v1, 16, v4
	v_add_co_u32_e32 v9, vcc, s16, v21
	v_addc_co_u32_e32 v10, vcc, 0, v22, vcc
	v_add_co_u32_e32 v11, vcc, s10, v11
	s_waitcnt vmcnt(0)
	v_mul_f16_sdwa v3, v1, v0 dst_sel:DWORD dst_unused:UNUSED_PAD src0_sel:DWORD src1_sel:WORD_1
	v_fma_f16 v3, v4, v0, v3
	v_mul_f16_sdwa v4, v4, v0 dst_sel:DWORD dst_unused:UNUSED_PAD src0_sel:DWORD src1_sel:WORD_1
	v_cvt_f32_f16_e32 v3, v3
	v_fma_f16 v0, v0, v1, -v4
	v_cvt_f32_f16_e32 v1, v0
	v_mov_b32_e32 v0, s11
	v_cvt_f64_f32_e32 v[3:4], v3
	v_addc_co_u32_e32 v12, vcc, v12, v0, vcc
	v_cvt_f64_f32_e32 v[5:6], v1
	v_mul_f64 v[3:4], v[3:4], s[6:7]
	v_mul_f64 v[5:6], v[5:6], s[6:7]
	v_and_or_b32 v1, v4, s17, v3
	v_cmp_ne_u32_e32 vcc, 0, v1
	v_lshrrev_b32_e32 v3, 8, v4
	v_and_or_b32 v5, v6, s17, v5
	v_bfe_u32 v7, v4, 20, 11
	v_cndmask_b32_e64 v1, 0, 1, vcc
	v_cmp_ne_u32_e32 vcc, 0, v5
	v_lshrrev_b32_e32 v13, 8, v6
	v_bfe_u32 v14, v6, 20, 11
	v_sub_u32_e32 v15, 0x3f1, v7
	v_cndmask_b32_e64 v5, 0, 1, vcc
	v_and_or_b32 v1, v3, s14, v1
	v_sub_u32_e32 v16, 0x3f1, v14
	v_med3_i32 v3, v15, 0, 13
	v_and_or_b32 v5, v13, s14, v5
	v_or_b32_e32 v15, 0x1000, v1
	v_add_u32_e32 v7, 0xfffffc10, v7
	v_med3_i32 v13, v16, 0, 13
	v_cmp_ne_u32_e32 vcc, 0, v1
	v_or_b32_e32 v17, 0x1000, v5
	v_lshrrev_b32_e32 v19, v3, v15
	v_add_u32_e32 v14, 0xfffffc10, v14
	v_lshl_or_b32 v16, v7, 12, v1
	v_cndmask_b32_e64 v1, 0, 1, vcc
	v_cmp_ne_u32_e32 vcc, 0, v5
	v_lshrrev_b32_e32 v20, v13, v17
	v_lshlrev_b32_e32 v3, v3, v19
	v_lshl_or_b32 v18, v14, 12, v5
	v_cndmask_b32_e64 v5, 0, 1, vcc
	v_lshlrev_b32_e32 v13, v13, v20
	v_cmp_ne_u32_e32 vcc, v3, v15
	v_cndmask_b32_e64 v3, 0, 1, vcc
	v_cmp_ne_u32_e32 vcc, v13, v17
	v_cndmask_b32_e64 v13, 0, 1, vcc
	v_or_b32_e32 v3, v19, v3
	v_cmp_gt_i32_e32 vcc, 1, v7
	v_cndmask_b32_e32 v3, v16, v3, vcc
	v_or_b32_e32 v13, v20, v13
	v_cmp_gt_i32_e32 vcc, 1, v14
	v_and_b32_e32 v15, 7, v3
	v_cndmask_b32_e32 v13, v18, v13, vcc
	v_cmp_lt_i32_e32 vcc, 5, v15
	v_cmp_eq_u32_e64 s[0:1], 3, v15
	v_lshrrev_b32_e32 v3, 2, v3
	v_and_b32_e32 v16, 7, v13
	s_or_b64 vcc, s[0:1], vcc
	v_cmp_lt_i32_e64 s[2:3], 5, v16
	v_cmp_eq_u32_e64 s[4:5], 3, v16
	v_addc_co_u32_e32 v3, vcc, 0, v3, vcc
	v_lshrrev_b32_e32 v13, 2, v13
	s_or_b64 vcc, s[4:5], s[2:3]
	v_addc_co_u32_e32 v13, vcc, 0, v13, vcc
	v_cmp_gt_i32_e32 vcc, 31, v7
	v_cndmask_b32_e32 v3, v8, v3, vcc
	v_cmp_gt_i32_e32 vcc, 31, v14
	v_lshl_or_b32 v1, v1, 9, v8
	v_cndmask_b32_e32 v13, v8, v13, vcc
	v_cmp_eq_u32_e32 vcc, s15, v7
	v_lshrrev_b32_e32 v4, 16, v4
	v_lshl_or_b32 v5, v5, 9, v8
	v_cndmask_b32_e32 v1, v3, v1, vcc
	v_cmp_eq_u32_e32 vcc, s15, v14
	v_lshrrev_b32_e32 v6, 16, v6
	v_cndmask_b32_e32 v3, v13, v5, vcc
	v_and_or_b32 v1, v4, s16, v1
	v_and_or_b32 v3, v6, s16, v3
	v_and_b32_e32 v1, 0xffff, v1
	v_lshl_or_b32 v1, v3, 16, v1
	global_store_dword v[11:12], v1, off
	global_load_dword v1, v[9:10], off offset:384
	ds_read_b32 v3, v107 offset:33152
	s_mov_b32 s0, 0xa000
	v_add_co_u32_e32 v9, vcc, s0, v21
	v_addc_co_u32_e32 v10, vcc, 0, v22, vcc
	s_waitcnt lgkmcnt(0)
	v_lshrrev_b32_e32 v4, 16, v3
	v_add_co_u32_e32 v11, vcc, s10, v11
	v_addc_co_u32_e32 v12, vcc, v12, v0, vcc
	s_waitcnt vmcnt(0)
	v_mul_f16_sdwa v5, v4, v1 dst_sel:DWORD dst_unused:UNUSED_PAD src0_sel:DWORD src1_sel:WORD_1
	v_fma_f16 v5, v3, v1, v5
	v_mul_f16_sdwa v3, v3, v1 dst_sel:DWORD dst_unused:UNUSED_PAD src0_sel:DWORD src1_sel:WORD_1
	v_cvt_f32_f16_e32 v5, v5
	v_fma_f16 v1, v1, v4, -v3
	v_cvt_f32_f16_e32 v1, v1
	v_cvt_f64_f32_e32 v[3:4], v5
	v_cvt_f64_f32_e32 v[5:6], v1
	v_mul_f64 v[3:4], v[3:4], s[6:7]
	v_mul_f64 v[5:6], v[5:6], s[6:7]
	v_and_or_b32 v1, v4, s17, v3
	v_cmp_ne_u32_e32 vcc, 0, v1
	v_and_or_b32 v5, v6, s17, v5
	v_lshrrev_b32_e32 v3, 8, v4
	v_bfe_u32 v7, v4, 20, 11
	v_cndmask_b32_e64 v1, 0, 1, vcc
	v_cmp_ne_u32_e32 vcc, 0, v5
	v_lshrrev_b32_e32 v13, 8, v6
	v_bfe_u32 v14, v6, 20, 11
	v_sub_u32_e32 v15, 0x3f1, v7
	v_cndmask_b32_e64 v5, 0, 1, vcc
	v_and_or_b32 v1, v3, s14, v1
	v_sub_u32_e32 v16, 0x3f1, v14
	v_med3_i32 v3, v15, 0, 13
	v_and_or_b32 v5, v13, s14, v5
	v_or_b32_e32 v15, 0x1000, v1
	v_add_u32_e32 v7, 0xfffffc10, v7
	v_med3_i32 v13, v16, 0, 13
	v_cmp_ne_u32_e32 vcc, 0, v1
	v_or_b32_e32 v17, 0x1000, v5
	v_lshrrev_b32_e32 v19, v3, v15
	v_add_u32_e32 v14, 0xfffffc10, v14
	v_lshl_or_b32 v16, v7, 12, v1
	v_cndmask_b32_e64 v1, 0, 1, vcc
	v_cmp_ne_u32_e32 vcc, 0, v5
	v_lshrrev_b32_e32 v20, v13, v17
	v_lshlrev_b32_e32 v3, v3, v19
	v_lshl_or_b32 v18, v14, 12, v5
	v_cndmask_b32_e64 v5, 0, 1, vcc
	v_lshlrev_b32_e32 v13, v13, v20
	v_cmp_ne_u32_e32 vcc, v3, v15
	v_cndmask_b32_e64 v3, 0, 1, vcc
	v_cmp_ne_u32_e32 vcc, v13, v17
	v_cndmask_b32_e64 v13, 0, 1, vcc
	v_or_b32_e32 v3, v19, v3
	v_cmp_gt_i32_e32 vcc, 1, v7
	v_cndmask_b32_e32 v3, v16, v3, vcc
	v_or_b32_e32 v13, v20, v13
	v_cmp_gt_i32_e32 vcc, 1, v14
	v_and_b32_e32 v15, 7, v3
	v_cndmask_b32_e32 v13, v18, v13, vcc
	v_cmp_lt_i32_e32 vcc, 5, v15
	v_cmp_eq_u32_e64 s[0:1], 3, v15
	v_lshrrev_b32_e32 v3, 2, v3
	v_and_b32_e32 v16, 7, v13
	s_or_b64 vcc, s[0:1], vcc
	v_cmp_lt_i32_e64 s[2:3], 5, v16
	v_cmp_eq_u32_e64 s[4:5], 3, v16
	v_addc_co_u32_e32 v3, vcc, 0, v3, vcc
	v_lshrrev_b32_e32 v13, 2, v13
	s_or_b64 vcc, s[4:5], s[2:3]
	v_addc_co_u32_e32 v13, vcc, 0, v13, vcc
	v_cmp_gt_i32_e32 vcc, 31, v7
	v_cndmask_b32_e32 v3, v8, v3, vcc
	v_cmp_gt_i32_e32 vcc, 31, v14
	v_lshl_or_b32 v1, v1, 9, v8
	v_cndmask_b32_e32 v13, v8, v13, vcc
	v_cmp_eq_u32_e32 vcc, s15, v7
	v_lshrrev_b32_e32 v4, 16, v4
	v_lshl_or_b32 v5, v5, 9, v8
	v_cndmask_b32_e32 v1, v3, v1, vcc
	v_cmp_eq_u32_e32 vcc, s15, v14
	v_lshrrev_b32_e32 v6, 16, v6
	v_cndmask_b32_e32 v3, v13, v5, vcc
	v_and_or_b32 v1, v4, s16, v1
	v_and_or_b32 v3, v6, s16, v3
	v_and_b32_e32 v1, 0xffff, v1
	v_lshl_or_b32 v1, v3, 16, v1
	global_store_dword v[11:12], v1, off
	global_load_dword v1, v[9:10], off offset:3392
	v_lshrrev_b32_e32 v3, 16, v2
	s_waitcnt vmcnt(0)
	v_mul_f16_sdwa v4, v3, v1 dst_sel:DWORD dst_unused:UNUSED_PAD src0_sel:DWORD src1_sel:WORD_1
	v_fma_f16 v4, v2, v1, v4
	v_mul_f16_sdwa v2, v2, v1 dst_sel:DWORD dst_unused:UNUSED_PAD src0_sel:DWORD src1_sel:WORD_1
	v_cvt_f32_f16_e32 v4, v4
	v_fma_f16 v1, v1, v3, -v2
	v_cvt_f32_f16_e32 v3, v1
	v_cvt_f64_f32_e32 v[1:2], v4
	v_cvt_f64_f32_e32 v[3:4], v3
	v_mul_f64 v[1:2], v[1:2], s[6:7]
	v_mul_f64 v[3:4], v[3:4], s[6:7]
	v_and_or_b32 v1, v2, s17, v1
	v_cmp_ne_u32_e32 vcc, 0, v1
	v_and_or_b32 v3, v4, s17, v3
	v_lshrrev_b32_e32 v5, 8, v2
	v_bfe_u32 v6, v2, 20, 11
	v_cndmask_b32_e64 v1, 0, 1, vcc
	v_cmp_ne_u32_e32 vcc, 0, v3
	v_lshrrev_b32_e32 v7, 8, v4
	v_bfe_u32 v9, v4, 20, 11
	v_sub_u32_e32 v10, 0x3f1, v6
	v_cndmask_b32_e64 v3, 0, 1, vcc
	v_and_or_b32 v1, v5, s14, v1
	v_sub_u32_e32 v13, 0x3f1, v9
	v_med3_i32 v5, v10, 0, 13
	v_and_or_b32 v3, v7, s14, v3
	v_or_b32_e32 v10, 0x1000, v1
	v_add_u32_e32 v6, 0xfffffc10, v6
	v_med3_i32 v7, v13, 0, 13
	v_cmp_ne_u32_e32 vcc, 0, v1
	v_or_b32_e32 v14, 0x1000, v3
	v_lshrrev_b32_e32 v16, v5, v10
	v_add_u32_e32 v9, 0xfffffc10, v9
	v_lshl_or_b32 v13, v6, 12, v1
	v_cndmask_b32_e64 v1, 0, 1, vcc
	v_cmp_ne_u32_e32 vcc, 0, v3
	v_lshrrev_b32_e32 v17, v7, v14
	v_lshlrev_b32_e32 v5, v5, v16
	v_lshl_or_b32 v15, v9, 12, v3
	v_cndmask_b32_e64 v3, 0, 1, vcc
	v_lshlrev_b32_e32 v7, v7, v17
	v_cmp_ne_u32_e32 vcc, v5, v10
	v_cndmask_b32_e64 v5, 0, 1, vcc
	v_cmp_ne_u32_e32 vcc, v7, v14
	v_cndmask_b32_e64 v7, 0, 1, vcc
	v_or_b32_e32 v5, v16, v5
	v_cmp_gt_i32_e32 vcc, 1, v6
	v_cndmask_b32_e32 v5, v13, v5, vcc
	v_or_b32_e32 v7, v17, v7
	v_cmp_gt_i32_e32 vcc, 1, v9
	v_and_b32_e32 v10, 7, v5
	v_cndmask_b32_e32 v7, v15, v7, vcc
	v_cmp_lt_i32_e32 vcc, 5, v10
	v_cmp_eq_u32_e64 s[0:1], 3, v10
	v_lshrrev_b32_e32 v5, 2, v5
	v_and_b32_e32 v13, 7, v7
	s_or_b64 vcc, s[0:1], vcc
	v_cmp_lt_i32_e64 s[2:3], 5, v13
	v_cmp_eq_u32_e64 s[4:5], 3, v13
	v_addc_co_u32_e32 v5, vcc, 0, v5, vcc
	v_lshrrev_b32_e32 v7, 2, v7
	s_or_b64 vcc, s[4:5], s[2:3]
	v_addc_co_u32_e32 v7, vcc, 0, v7, vcc
	v_cmp_gt_i32_e32 vcc, 31, v6
	v_cndmask_b32_e32 v5, v8, v5, vcc
	v_cmp_gt_i32_e32 vcc, 31, v9
	v_lshl_or_b32 v1, v1, 9, v8
	v_cndmask_b32_e32 v7, v8, v7, vcc
	v_cmp_eq_u32_e32 vcc, s15, v6
	v_lshrrev_b32_e32 v2, 16, v2
	v_lshl_or_b32 v3, v3, 9, v8
	v_cndmask_b32_e32 v1, v5, v1, vcc
	v_cmp_eq_u32_e32 vcc, s15, v9
	v_lshrrev_b32_e32 v4, 16, v4
	v_cndmask_b32_e32 v3, v7, v3, vcc
	v_and_or_b32 v1, v2, s16, v1
	v_and_or_b32 v2, v4, s16, v3
	v_and_b32_e32 v1, 0xffff, v1
	v_lshl_or_b32 v3, v2, 16, v1
	v_add_co_u32_e32 v1, vcc, s10, v11
	v_addc_co_u32_e32 v2, vcc, v12, v0, vcc
	global_store_dword v[1:2], v3, off
.LBB0_31:
	s_endpgm
	.section	.rodata,"a",@progbits
	.p2align	6, 0x0
	.amdhsa_kernel bluestein_single_fwd_len11200_dim1_half_op_CI_CI
		.amdhsa_group_segment_fixed_size 44800
		.amdhsa_private_segment_fixed_size 308
		.amdhsa_kernarg_size 104
		.amdhsa_user_sgpr_count 6
		.amdhsa_user_sgpr_private_segment_buffer 1
		.amdhsa_user_sgpr_dispatch_ptr 0
		.amdhsa_user_sgpr_queue_ptr 0
		.amdhsa_user_sgpr_kernarg_segment_ptr 1
		.amdhsa_user_sgpr_dispatch_id 0
		.amdhsa_user_sgpr_flat_scratch_init 0
		.amdhsa_user_sgpr_private_segment_size 0
		.amdhsa_uses_dynamic_stack 0
		.amdhsa_system_sgpr_private_segment_wavefront_offset 1
		.amdhsa_system_sgpr_workgroup_id_x 1
		.amdhsa_system_sgpr_workgroup_id_y 0
		.amdhsa_system_sgpr_workgroup_id_z 0
		.amdhsa_system_sgpr_workgroup_info 0
		.amdhsa_system_vgpr_workitem_id 0
		.amdhsa_next_free_vgpr 128
		.amdhsa_next_free_sgpr 28
		.amdhsa_reserve_vcc 1
		.amdhsa_reserve_flat_scratch 0
		.amdhsa_float_round_mode_32 0
		.amdhsa_float_round_mode_16_64 0
		.amdhsa_float_denorm_mode_32 3
		.amdhsa_float_denorm_mode_16_64 3
		.amdhsa_dx10_clamp 1
		.amdhsa_ieee_mode 1
		.amdhsa_fp16_overflow 0
		.amdhsa_exception_fp_ieee_invalid_op 0
		.amdhsa_exception_fp_denorm_src 0
		.amdhsa_exception_fp_ieee_div_zero 0
		.amdhsa_exception_fp_ieee_overflow 0
		.amdhsa_exception_fp_ieee_underflow 0
		.amdhsa_exception_fp_ieee_inexact 0
		.amdhsa_exception_int_div_zero 0
	.end_amdhsa_kernel
	.text
.Lfunc_end0:
	.size	bluestein_single_fwd_len11200_dim1_half_op_CI_CI, .Lfunc_end0-bluestein_single_fwd_len11200_dim1_half_op_CI_CI
                                        ; -- End function
	.section	.AMDGPU.csdata,"",@progbits
; Kernel info:
; codeLenInByte = 49708
; NumSgprs: 32
; NumVgprs: 128
; ScratchSize: 308
; MemoryBound: 0
; FloatMode: 240
; IeeeMode: 1
; LDSByteSize: 44800 bytes/workgroup (compile time only)
; SGPRBlocks: 3
; VGPRBlocks: 31
; NumSGPRsForWavesPerEU: 32
; NumVGPRsForWavesPerEU: 128
; Occupancy: 2
; WaveLimiterHint : 1
; COMPUTE_PGM_RSRC2:SCRATCH_EN: 1
; COMPUTE_PGM_RSRC2:USER_SGPR: 6
; COMPUTE_PGM_RSRC2:TRAP_HANDLER: 0
; COMPUTE_PGM_RSRC2:TGID_X_EN: 1
; COMPUTE_PGM_RSRC2:TGID_Y_EN: 0
; COMPUTE_PGM_RSRC2:TGID_Z_EN: 0
; COMPUTE_PGM_RSRC2:TIDIG_COMP_CNT: 0
	.type	__hip_cuid_fcb9950bb79a780f,@object ; @__hip_cuid_fcb9950bb79a780f
	.section	.bss,"aw",@nobits
	.globl	__hip_cuid_fcb9950bb79a780f
__hip_cuid_fcb9950bb79a780f:
	.byte	0                               ; 0x0
	.size	__hip_cuid_fcb9950bb79a780f, 1

	.ident	"AMD clang version 19.0.0git (https://github.com/RadeonOpenCompute/llvm-project roc-6.4.0 25133 c7fe45cf4b819c5991fe208aaa96edf142730f1d)"
	.section	".note.GNU-stack","",@progbits
	.addrsig
	.addrsig_sym __hip_cuid_fcb9950bb79a780f
	.amdgpu_metadata
---
amdhsa.kernels:
  - .args:
      - .actual_access:  read_only
        .address_space:  global
        .offset:         0
        .size:           8
        .value_kind:     global_buffer
      - .actual_access:  read_only
        .address_space:  global
        .offset:         8
        .size:           8
        .value_kind:     global_buffer
      - .actual_access:  read_only
        .address_space:  global
        .offset:         16
        .size:           8
        .value_kind:     global_buffer
      - .actual_access:  read_only
        .address_space:  global
        .offset:         24
        .size:           8
        .value_kind:     global_buffer
      - .actual_access:  read_only
        .address_space:  global
        .offset:         32
        .size:           8
        .value_kind:     global_buffer
      - .offset:         40
        .size:           8
        .value_kind:     by_value
      - .address_space:  global
        .offset:         48
        .size:           8
        .value_kind:     global_buffer
      - .address_space:  global
        .offset:         56
        .size:           8
        .value_kind:     global_buffer
      - .address_space:  global
        .offset:         64
        .size:           8
        .value_kind:     global_buffer
      - .address_space:  global
        .offset:         72
        .size:           8
        .value_kind:     global_buffer
      - .offset:         80
        .size:           4
        .value_kind:     by_value
      - .address_space:  global
        .offset:         88
        .size:           8
        .value_kind:     global_buffer
      - .address_space:  global
        .offset:         96
        .size:           8
        .value_kind:     global_buffer
    .group_segment_fixed_size: 44800
    .kernarg_segment_align: 8
    .kernarg_segment_size: 104
    .language:       OpenCL C
    .language_version:
      - 2
      - 0
    .max_flat_workgroup_size: 448
    .name:           bluestein_single_fwd_len11200_dim1_half_op_CI_CI
    .private_segment_fixed_size: 308
    .sgpr_count:     32
    .sgpr_spill_count: 0
    .symbol:         bluestein_single_fwd_len11200_dim1_half_op_CI_CI.kd
    .uniform_work_group_size: 1
    .uses_dynamic_stack: false
    .vgpr_count:     128
    .vgpr_spill_count: 90
    .wavefront_size: 64
amdhsa.target:   amdgcn-amd-amdhsa--gfx906
amdhsa.version:
  - 1
  - 2
...

	.end_amdgpu_metadata
